;; amdgpu-corpus repo=ROCm/rocSPARSE kind=compiled arch=gfx1201 opt=O3
	.amdgcn_target "amdgcn-amd-amdhsa--gfx1201"
	.amdhsa_code_object_version 6
	.section	.text._ZN9rocsparseL19gpsv_strided_gatherILj256EfEEviiiPKT0_PS1_,"axG",@progbits,_ZN9rocsparseL19gpsv_strided_gatherILj256EfEEviiiPKT0_PS1_,comdat
	.globl	_ZN9rocsparseL19gpsv_strided_gatherILj256EfEEviiiPKT0_PS1_ ; -- Begin function _ZN9rocsparseL19gpsv_strided_gatherILj256EfEEviiiPKT0_PS1_
	.p2align	8
	.type	_ZN9rocsparseL19gpsv_strided_gatherILj256EfEEviiiPKT0_PS1_,@function
_ZN9rocsparseL19gpsv_strided_gatherILj256EfEEviiiPKT0_PS1_: ; @_ZN9rocsparseL19gpsv_strided_gatherILj256EfEEviiiPKT0_PS1_
; %bb.0:
	s_clause 0x1
	s_load_b32 s2, s[0:1], 0x2c
	s_load_b96 s[4:6], s[0:1], 0x0
	s_wait_kmcnt 0x0
	s_and_b32 s2, s2, 0xffff
	s_cmp_gt_i32 s4, 0
	v_mad_co_u64_u32 v[0:1], null, ttmp9, s2, v[0:1]
	s_cselect_b32 s2, -1, 0
	v_cmp_gt_i32_e32 vcc_lo, s5, v0
	s_wait_alu 0xfffe
	s_and_b32 s2, vcc_lo, s2
	s_wait_alu 0xfffe
	s_and_saveexec_b32 s3, s2
	s_cbranch_execz .LBB0_3
; %bb.1:
	s_load_b128 s[0:3], s[0:1], 0x10
	v_mov_b32_e32 v2, v0
.LBB0_2:                                ; =>This Inner Loop Header: Depth=1
	v_ashrrev_i32_e32 v1, 31, v0
	s_add_co_i32 s4, s4, -1
	s_wait_alu 0xfffe
	s_cmp_lg_u32 s4, 0
	s_delay_alu instid0(VALU_DEP_1) | instskip(SKIP_2) | instid1(VALU_DEP_2)
	v_lshlrev_b64_e32 v[3:4], 2, v[0:1]
	v_add_nc_u32_e32 v0, s6, v0
	s_wait_kmcnt 0x0
	v_add_co_u32 v3, vcc_lo, s0, v3
	s_wait_alu 0xfffd
	s_delay_alu instid0(VALU_DEP_3) | instskip(SKIP_2) | instid1(VALU_DEP_1)
	v_add_co_ci_u32_e64 v4, null, s1, v4, vcc_lo
	global_load_b32 v1, v[3:4], off
	v_ashrrev_i32_e32 v3, 31, v2
	v_lshlrev_b64_e32 v[3:4], 2, v[2:3]
	v_add_nc_u32_e32 v2, s5, v2
	s_delay_alu instid0(VALU_DEP_2) | instskip(SKIP_1) | instid1(VALU_DEP_3)
	v_add_co_u32 v3, vcc_lo, s2, v3
	s_wait_alu 0xfffd
	v_add_co_ci_u32_e64 v4, null, s3, v4, vcc_lo
	s_wait_loadcnt 0x0
	global_store_b32 v[3:4], v1, off
	s_cbranch_scc1 .LBB0_2
.LBB0_3:
	s_endpgm
	.section	.rodata,"a",@progbits
	.p2align	6, 0x0
	.amdhsa_kernel _ZN9rocsparseL19gpsv_strided_gatherILj256EfEEviiiPKT0_PS1_
		.amdhsa_group_segment_fixed_size 0
		.amdhsa_private_segment_fixed_size 0
		.amdhsa_kernarg_size 288
		.amdhsa_user_sgpr_count 2
		.amdhsa_user_sgpr_dispatch_ptr 0
		.amdhsa_user_sgpr_queue_ptr 0
		.amdhsa_user_sgpr_kernarg_segment_ptr 1
		.amdhsa_user_sgpr_dispatch_id 0
		.amdhsa_user_sgpr_private_segment_size 0
		.amdhsa_wavefront_size32 1
		.amdhsa_uses_dynamic_stack 0
		.amdhsa_enable_private_segment 0
		.amdhsa_system_sgpr_workgroup_id_x 1
		.amdhsa_system_sgpr_workgroup_id_y 0
		.amdhsa_system_sgpr_workgroup_id_z 0
		.amdhsa_system_sgpr_workgroup_info 0
		.amdhsa_system_vgpr_workitem_id 0
		.amdhsa_next_free_vgpr 5
		.amdhsa_next_free_sgpr 7
		.amdhsa_reserve_vcc 1
		.amdhsa_float_round_mode_32 0
		.amdhsa_float_round_mode_16_64 0
		.amdhsa_float_denorm_mode_32 3
		.amdhsa_float_denorm_mode_16_64 3
		.amdhsa_fp16_overflow 0
		.amdhsa_workgroup_processor_mode 1
		.amdhsa_memory_ordered 1
		.amdhsa_forward_progress 1
		.amdhsa_inst_pref_size 2
		.amdhsa_round_robin_scheduling 0
		.amdhsa_exception_fp_ieee_invalid_op 0
		.amdhsa_exception_fp_denorm_src 0
		.amdhsa_exception_fp_ieee_div_zero 0
		.amdhsa_exception_fp_ieee_overflow 0
		.amdhsa_exception_fp_ieee_underflow 0
		.amdhsa_exception_fp_ieee_inexact 0
		.amdhsa_exception_int_div_zero 0
	.end_amdhsa_kernel
	.section	.text._ZN9rocsparseL19gpsv_strided_gatherILj256EfEEviiiPKT0_PS1_,"axG",@progbits,_ZN9rocsparseL19gpsv_strided_gatherILj256EfEEviiiPKT0_PS1_,comdat
.Lfunc_end0:
	.size	_ZN9rocsparseL19gpsv_strided_gatherILj256EfEEviiiPKT0_PS1_, .Lfunc_end0-_ZN9rocsparseL19gpsv_strided_gatherILj256EfEEviiiPKT0_PS1_
                                        ; -- End function
	.set _ZN9rocsparseL19gpsv_strided_gatherILj256EfEEviiiPKT0_PS1_.num_vgpr, 5
	.set _ZN9rocsparseL19gpsv_strided_gatherILj256EfEEviiiPKT0_PS1_.num_agpr, 0
	.set _ZN9rocsparseL19gpsv_strided_gatherILj256EfEEviiiPKT0_PS1_.numbered_sgpr, 7
	.set _ZN9rocsparseL19gpsv_strided_gatherILj256EfEEviiiPKT0_PS1_.num_named_barrier, 0
	.set _ZN9rocsparseL19gpsv_strided_gatherILj256EfEEviiiPKT0_PS1_.private_seg_size, 0
	.set _ZN9rocsparseL19gpsv_strided_gatherILj256EfEEviiiPKT0_PS1_.uses_vcc, 1
	.set _ZN9rocsparseL19gpsv_strided_gatherILj256EfEEviiiPKT0_PS1_.uses_flat_scratch, 0
	.set _ZN9rocsparseL19gpsv_strided_gatherILj256EfEEviiiPKT0_PS1_.has_dyn_sized_stack, 0
	.set _ZN9rocsparseL19gpsv_strided_gatherILj256EfEEviiiPKT0_PS1_.has_recursion, 0
	.set _ZN9rocsparseL19gpsv_strided_gatherILj256EfEEviiiPKT0_PS1_.has_indirect_call, 0
	.section	.AMDGPU.csdata,"",@progbits
; Kernel info:
; codeLenInByte = 212
; TotalNumSgprs: 9
; NumVgprs: 5
; ScratchSize: 0
; MemoryBound: 0
; FloatMode: 240
; IeeeMode: 1
; LDSByteSize: 0 bytes/workgroup (compile time only)
; SGPRBlocks: 0
; VGPRBlocks: 0
; NumSGPRsForWavesPerEU: 9
; NumVGPRsForWavesPerEU: 5
; Occupancy: 16
; WaveLimiterHint : 0
; COMPUTE_PGM_RSRC2:SCRATCH_EN: 0
; COMPUTE_PGM_RSRC2:USER_SGPR: 2
; COMPUTE_PGM_RSRC2:TRAP_HANDLER: 0
; COMPUTE_PGM_RSRC2:TGID_X_EN: 1
; COMPUTE_PGM_RSRC2:TGID_Y_EN: 0
; COMPUTE_PGM_RSRC2:TGID_Z_EN: 0
; COMPUTE_PGM_RSRC2:TIDIG_COMP_CNT: 0
	.section	.text._ZN9rocsparseL44gpsv_interleaved_batch_householder_qr_kernelILj256EfEEviiiPT0_S2_S2_S2_S2_S2_S2_S2_S2_,"axG",@progbits,_ZN9rocsparseL44gpsv_interleaved_batch_householder_qr_kernelILj256EfEEviiiPT0_S2_S2_S2_S2_S2_S2_S2_S2_,comdat
	.globl	_ZN9rocsparseL44gpsv_interleaved_batch_householder_qr_kernelILj256EfEEviiiPT0_S2_S2_S2_S2_S2_S2_S2_S2_ ; -- Begin function _ZN9rocsparseL44gpsv_interleaved_batch_householder_qr_kernelILj256EfEEviiiPT0_S2_S2_S2_S2_S2_S2_S2_S2_
	.p2align	8
	.type	_ZN9rocsparseL44gpsv_interleaved_batch_householder_qr_kernelILj256EfEEviiiPT0_S2_S2_S2_S2_S2_S2_S2_S2_,@function
_ZN9rocsparseL44gpsv_interleaved_batch_householder_qr_kernelILj256EfEEviiiPT0_S2_S2_S2_S2_S2_S2_S2_S2_: ; @_ZN9rocsparseL44gpsv_interleaved_batch_householder_qr_kernelILj256EfEEviiiPT0_S2_S2_S2_S2_S2_S2_S2_S2_
; %bb.0:
	s_clause 0x1
	s_load_b32 s2, s[0:1], 0x64
	s_load_b96 s[12:14], s[0:1], 0x0
	s_wait_kmcnt 0x0
	s_and_b32 s2, s2, 0xffff
	s_delay_alu instid0(SALU_CYCLE_1) | instskip(SKIP_2) | instid1(VALU_DEP_1)
	s_mul_i32 s15, ttmp9, s2
	s_mov_b32 s2, exec_lo
	v_add_nc_u32_e32 v1, s15, v0
	v_cmpx_gt_i32_e64 s13, v1
	s_cbranch_execz .LBB1_24
; %bb.1:
	s_clause 0x3
	s_load_b64 s[16:17], s[0:1], 0x50
	s_load_b128 s[4:7], s[0:1], 0x40
	s_load_b128 s[8:11], s[0:1], 0x20
	s_load_b64 s[18:19], s[0:1], 0x30
	s_cmp_lt_i32 s12, 2
	s_cbranch_scc1 .LBB1_11
; %bb.2:
	s_load_b64 s[20:21], s[0:1], 0x18
	s_add_co_i32 s24, s12, -2
	s_mov_b32 s2, 0
	s_cmp_eq_u32 s24, 0
	s_cbranch_scc1 .LBB1_8
; %bb.3:
	s_load_b64 s[22:23], s[0:1], 0x10
	v_dual_mov_b32 v15, v0 :: v_dual_add_nc_u32 v10, s13, v0
	v_lshl_add_u32 v11, s13, 1, v0
	v_lshl_add_u32 v12, s14, 1, v0
	v_dual_mov_b32 v14, v0 :: v_dual_add_nc_u32 v13, s14, v0
	s_mov_b32 s25, 0
	s_branch .LBB1_5
.LBB1_4:                                ;   in Loop: Header=BB1_5 Depth=1
	s_or_b32 exec_lo, exec_lo, s26
	v_add_nc_u32_e32 v15, s13, v15
	v_add_nc_u32_e32 v10, s13, v10
	;; [unrolled: 1-line block ×6, first 2 shown]
	s_add_co_i32 s25, s25, 1
	s_delay_alu instid0(SALU_CYCLE_1)
	s_cmp_eq_u32 s24, s25
	s_cbranch_scc1 .LBB1_7
.LBB1_5:                                ; =>This Inner Loop Header: Depth=1
	s_delay_alu instid0(VALU_DEP_2) | instskip(NEXT) | instid1(VALU_DEP_2)
	v_add_nc_u32_e32 v2, s15, v12
	v_add_nc_u32_e32 v4, s15, v13
	s_mov_b32 s26, exec_lo
	s_delay_alu instid0(VALU_DEP_2) | instskip(NEXT) | instid1(VALU_DEP_2)
	v_ashrrev_i32_e32 v3, 31, v2
	v_ashrrev_i32_e32 v5, 31, v4
	s_delay_alu instid0(VALU_DEP_2) | instskip(NEXT) | instid1(VALU_DEP_2)
	v_lshlrev_b64_e32 v[8:9], 2, v[2:3]
	v_lshlrev_b64_e32 v[6:7], 2, v[4:5]
	s_wait_kmcnt 0x0
	s_delay_alu instid0(VALU_DEP_2) | instskip(SKIP_1) | instid1(VALU_DEP_3)
	v_add_co_u32 v2, vcc_lo, s22, v8
	s_wait_alu 0xfffd
	v_add_co_ci_u32_e64 v3, null, s23, v9, vcc_lo
	s_delay_alu instid0(VALU_DEP_3)
	v_add_co_u32 v4, vcc_lo, s20, v6
	s_wait_alu 0xfffd
	v_add_co_ci_u32_e64 v5, null, s21, v7, vcc_lo
	global_load_b32 v16, v[2:3], off
	global_load_b32 v17, v[4:5], off
	s_wait_loadcnt 0x1
	v_mul_f32_e32 v18, v16, v16
	s_wait_loadcnt 0x0
	s_delay_alu instid0(VALU_DEP_1) | instskip(NEXT) | instid1(VALU_DEP_1)
	v_fmac_f32_e32 v18, v17, v17
	v_cmpx_neq_f32_e32 0, v18
	s_cbranch_execz .LBB1_4
; %bb.6:                                ;   in Loop: Header=BB1_5 Depth=1
	v_add_nc_u32_e32 v19, s15, v14
	v_add_nc_u32_e32 v23, s15, v15
	v_add_co_u32 v35, s2, s18, v8
	s_wait_alu 0xf1ff
	v_add_co_ci_u32_e64 v36, null, s19, v9, s2
	v_ashrrev_i32_e32 v20, 31, v19
	v_ashrrev_i32_e32 v24, 31, v23
	v_add_co_u32 v37, s2, s8, v8
	s_wait_alu 0xf1ff
	v_add_co_ci_u32_e64 v38, null, s9, v9, s2
	v_lshlrev_b64_e32 v[19:20], 2, v[19:20]
	v_lshlrev_b64_e32 v[23:24], 2, v[23:24]
	v_add_nc_u32_e32 v39, s15, v10
	s_delay_alu instid0(VALU_DEP_3) | instskip(SKIP_1) | instid1(VALU_DEP_4)
	v_add_co_u32 v21, vcc_lo, s8, v19
	s_wait_alu 0xfffd
	v_add_co_ci_u32_e64 v22, null, s9, v20, vcc_lo
	v_add_co_u32 v25, vcc_lo, s18, v6
	s_wait_alu 0xfffd
	v_add_co_ci_u32_e64 v26, null, s19, v7, vcc_lo
	global_load_b32 v47, v[21:22], off
	v_add_co_u32 v27, vcc_lo, s4, v23
	s_wait_alu 0xfffd
	v_add_co_ci_u32_e64 v28, null, s5, v24, vcc_lo
	v_add_co_u32 v29, vcc_lo, s10, v8
	s_wait_alu 0xfffd
	v_add_co_ci_u32_e64 v30, null, s11, v9, vcc_lo
	;; [unrolled: 3-line block ×3, first 2 shown]
	v_add_co_u32 v8, s2, s20, v8
	s_wait_alu 0xf1ff
	v_add_co_ci_u32_e64 v9, null, s21, v9, s2
	v_add_co_u32 v6, s2, s10, v6
	s_wait_alu 0xf1ff
	v_add_co_ci_u32_e64 v7, null, s11, v7, s2
	global_load_b32 v48, v[25:26], off
	global_load_b32 v49, v[27:28], off
	;; [unrolled: 1-line block ×7, first 2 shown]
	s_wait_loadcnt 0x7
	v_fma_f32 v33, v47, v47, v18
	s_delay_alu instid0(VALU_DEP_1) | instskip(SKIP_2) | instid1(VALU_DEP_2)
	v_mul_f32_e32 v34, 0x4f800000, v33
	v_cmp_gt_f32_e32 vcc_lo, 0xf800000, v33
	s_wait_alu 0xfffd
	v_cndmask_b32_e32 v43, v33, v34, vcc_lo
	s_delay_alu instid0(VALU_DEP_1) | instskip(NEXT) | instid1(TRANS32_DEP_1)
	v_sqrt_f32_e32 v34, v43
	v_add_nc_u32_e32 v40, -1, v34
	v_add_nc_u32_e32 v41, 1, v34
	s_delay_alu instid0(VALU_DEP_2) | instskip(NEXT) | instid1(VALU_DEP_2)
	v_fma_f32 v42, -v40, v34, v43
	v_fma_f32 v44, -v41, v34, v43
	s_delay_alu instid0(VALU_DEP_2) | instskip(SKIP_1) | instid1(VALU_DEP_1)
	v_cmp_ge_f32_e64 s2, 0, v42
	s_wait_alu 0xf1ff
	v_cndmask_b32_e64 v42, v34, v40, s2
	s_delay_alu instid0(VALU_DEP_3) | instskip(SKIP_2) | instid1(VALU_DEP_2)
	v_cmp_lt_f32_e64 s2, 0, v44
	v_ashrrev_i32_e32 v40, 31, v39
	s_wait_alu 0xf1ff
	v_cndmask_b32_e64 v41, v42, v41, s2
	s_delay_alu instid0(VALU_DEP_2) | instskip(NEXT) | instid1(VALU_DEP_2)
	v_lshlrev_b64_e32 v[39:40], 2, v[39:40]
	v_dual_mul_f32 v42, 0x37800000, v41 :: v_dual_add_nc_u32 v33, s15, v11
	s_delay_alu instid0(VALU_DEP_1) | instskip(NEXT) | instid1(VALU_DEP_3)
	v_cndmask_b32_e32 v44, v41, v42, vcc_lo
	v_add_co_u32 v41, vcc_lo, s16, v39
	s_wait_alu 0xfffd
	s_delay_alu instid0(VALU_DEP_4)
	v_add_co_ci_u32_e64 v42, null, s17, v40, vcc_lo
	v_cmp_class_f32_e64 vcc_lo, v43, 0x260
	v_ashrrev_i32_e32 v34, 31, v33
	s_wait_alu 0xfffd
	v_cndmask_b32_e32 v45, v44, v43, vcc_lo
	v_add_co_u32 v43, vcc_lo, s10, v19
	s_wait_alu 0xfffd
	v_add_co_ci_u32_e64 v44, null, s11, v20, vcc_lo
	v_cmp_lt_f32_e32 vcc_lo, 0, v47
	global_load_b32 v61, v[41:42], off
	global_load_b32 v62, v[43:44], off
	v_lshlrev_b64_e32 v[33:34], 2, v[33:34]
	s_wait_alu 0xfffd
	v_cndmask_b32_e64 v45, -v45, v45, vcc_lo
	v_add_co_u32 v19, vcc_lo, s18, v19
	s_wait_alu 0xfffd
	v_add_co_ci_u32_e64 v20, null, s19, v20, vcc_lo
	v_add_co_u32 v39, vcc_lo, s4, v39
	s_wait_alu 0xfffd
	v_add_co_ci_u32_e64 v40, null, s5, v40, vcc_lo
	global_load_b32 v64, v[19:20], off
	global_load_b32 v65, v[39:40], off
	v_add_f32_e32 v55, v47, v45
	v_add_co_u32 v45, vcc_lo, s6, v23
	s_wait_alu 0xfffd
	v_add_co_ci_u32_e64 v46, null, s7, v24, vcc_lo
	s_delay_alu instid0(VALU_DEP_3) | instskip(SKIP_2) | instid1(VALU_DEP_3)
	v_mul_f32_e32 v58, v55, v55
	v_add_co_u32 v23, vcc_lo, s16, v23
	v_add_co_u32 v33, s2, s16, v33
	v_add_f32_e32 v58, v58, v58
	v_div_scale_f32 v56, null, v55, v55, v17
	v_fmac_f32_e32 v18, v55, v55
	v_div_scale_f32 v57, null, v55, v55, v16
	s_delay_alu instid0(VALU_DEP_3)
	v_rcp_f32_e32 v59, v56
	s_wait_alu 0xfffd
	v_add_co_ci_u32_e64 v24, null, s17, v24, vcc_lo
	v_div_scale_f32 v63, null, v18, v18, v58
	v_rcp_f32_e32 v60, v57
	v_div_scale_f32 v69, vcc_lo, v17, v55, v17
	s_delay_alu instid0(VALU_DEP_2) | instskip(SKIP_2) | instid1(TRANS32_DEP_3)
	v_rcp_f32_e32 v68, v63
	s_wait_alu 0xf1ff
	v_add_co_ci_u32_e64 v34, null, s17, v34, s2
	v_fma_f32 v66, -v56, v59, 1.0
	v_div_scale_f32 v74, s3, v58, v18, v58
	s_delay_alu instid0(TRANS32_DEP_2) | instskip(NEXT) | instid1(TRANS32_DEP_1)
	v_fma_f32 v67, -v57, v60, 1.0
	v_fma_f32 v72, -v63, v68, 1.0
	s_delay_alu instid0(VALU_DEP_4) | instskip(SKIP_1) | instid1(VALU_DEP_4)
	v_fmac_f32_e32 v59, v66, v59
	v_div_scale_f32 v66, s2, v16, v55, v16
	v_fmac_f32_e32 v60, v67, v60
	global_load_b32 v67, v[45:46], off
	global_load_b32 v70, v[23:24], off
	v_fmac_f32_e32 v68, v72, v68
	global_load_b32 v76, v[8:9], off
	global_load_b32 v77, v[33:34], off
	v_mul_f32_e32 v71, v69, v59
	v_mul_f32_e32 v73, v66, v60
	s_delay_alu instid0(VALU_DEP_2) | instskip(NEXT) | instid1(VALU_DEP_2)
	v_fma_f32 v75, -v56, v71, v69
	v_fma_f32 v72, -v57, v73, v66
	s_delay_alu instid0(VALU_DEP_2) | instskip(NEXT) | instid1(VALU_DEP_2)
	v_fmac_f32_e32 v71, v75, v59
	v_fmac_f32_e32 v73, v72, v60
	s_delay_alu instid0(VALU_DEP_2) | instskip(NEXT) | instid1(VALU_DEP_2)
	v_fma_f32 v56, -v56, v71, v69
	v_fma_f32 v57, -v57, v73, v66
	s_wait_alu 0xfffd
	s_delay_alu instid0(VALU_DEP_2)
	v_div_fmas_f32 v56, v56, v59, v71
	s_mov_b32 vcc_lo, s2
	s_wait_alu 0xfffe
	v_div_fmas_f32 v57, v57, v60, v73
	s_mov_b32 vcc_lo, s3
	v_div_fixup_f32 v56, v56, v55, v17
	s_delay_alu instid0(VALU_DEP_2)
	v_div_fixup_f32 v55, v57, v55, v16
	global_store_b32 v[4:5], v56, off
	v_fma_f32 v17, v56, v17, v47
	global_store_b32 v[2:3], v55, off
	v_fmac_f32_e32 v17, v55, v16
	s_wait_loadcnt 0x5
	v_fma_f32 v60, v56, v54, v64
	s_delay_alu instid0(VALU_DEP_1) | instskip(NEXT) | instid1(VALU_DEP_1)
	v_dual_mul_f32 v75, v74, v68 :: v_dual_fmac_f32 v60, v55, v53
	v_fma_f32 v69, -v63, v75, v74
	s_delay_alu instid0(VALU_DEP_1) | instskip(NEXT) | instid1(VALU_DEP_1)
	v_fmac_f32_e32 v75, v69, v68
	v_fma_f32 v59, -v63, v75, v74
	s_wait_alu 0xfffe
	s_delay_alu instid0(VALU_DEP_1) | instskip(SKIP_1) | instid1(VALU_DEP_2)
	v_div_fmas_f32 v57, v59, v68, v75
	v_fma_f32 v59, v56, v48, v49
	v_div_fixup_f32 v18, v57, v18, v58
	s_delay_alu instid0(VALU_DEP_2) | instskip(SKIP_1) | instid1(VALU_DEP_3)
	v_fmac_f32_e32 v59, v55, v50
	v_fma_f32 v58, v56, v51, v62
	v_fma_f32 v17, -v17, v18, v47
	s_delay_alu instid0(VALU_DEP_3)
	v_fma_f32 v49, -v59, v18, v49
	v_mul_f32_e32 v5, v60, v18
	v_mul_f32_e32 v16, v59, v18
	global_store_b32 v[27:28], v49, off
	global_load_b32 v27, v[39:40], off
	v_fma_f32 v28, v56, v56, 1.0
	s_wait_loadcnt 0x4
	v_fma_f32 v63, v56, v65, v67
	s_wait_loadcnt 0x3
	v_fma_f32 v65, v56, v61, v70
	s_wait_loadcnt 0x2
	v_fmac_f32_e32 v58, v55, v76
	v_fmac_f32_e32 v28, v55, v55
	v_fmac_f32_e32 v63, v55, v52
	s_wait_loadcnt 0x1
	v_fmac_f32_e32 v65, v55, v77
	v_fma_f32 v47, -v58, v18, v62
	v_div_scale_f32 v49, null, v28, v28, 2.0
	v_div_scale_f32 v2, vcc_lo, 2.0, v28, 2.0
	v_mul_f32_e32 v59, v63, v18
	s_delay_alu instid0(VALU_DEP_3) | instskip(NEXT) | instid1(TRANS32_DEP_1)
	v_rcp_f32_e32 v57, v49
	v_fma_f32 v4, -v49, v57, 1.0
	s_delay_alu instid0(VALU_DEP_1)
	v_dual_fmac_f32 v57, v4, v57 :: v_dual_mul_f32 v4, v58, v18
	v_fma_f32 v58, -v60, v18, v64
	v_fma_f32 v18, -v63, v18, v67
	global_store_b32 v[21:22], v17, off
	global_store_b32 v[43:44], v47, off
	;; [unrolled: 1-line block ×4, first 2 shown]
	v_mul_f32_e32 v3, v2, v57
	v_fma_f32 v17, -v4, v56, v51
	v_fma_f32 v18, -v5, v56, v54
	;; [unrolled: 1-line block ×6, first 2 shown]
	s_delay_alu instid0(VALU_DEP_2) | instskip(NEXT) | instid1(VALU_DEP_1)
	v_fmac_f32_e32 v3, v66, v57
	v_fma_f32 v2, -v49, v3, v2
	s_wait_alu 0xfffd
	s_delay_alu instid0(VALU_DEP_1)
	v_div_fmas_f32 v2, v2, v57, v3
	v_fma_f32 v3, -v16, v56, v48
	global_store_b32 v[31:32], v17, off
	global_store_b32 v[6:7], v18, off
	;; [unrolled: 1-line block ×3, first 2 shown]
	v_div_fixup_f32 v2, v2, v28, 2.0
	v_fma_f32 v16, -v16, v55, v50
	global_store_b32 v[8:9], v4, off
	global_store_b32 v[37:38], v5, off
	;; [unrolled: 1-line block ×3, first 2 shown]
	v_mul_f32_e32 v3, v65, v2
	v_fma_f32 v2, -v65, v2, v70
	s_delay_alu instid0(VALU_DEP_2)
	v_fma_f32 v4, -v56, v3, v61
	v_fma_f32 v3, -v55, v3, v77
	s_wait_loadcnt 0x0
	v_fma_f32 v5, -v59, v56, v27
	global_store_b32 v[35:36], v19, off
	s_clause 0x1
	global_store_b32 v[23:24], v2, off
	global_store_b32 v[41:42], v4, off
	;; [unrolled: 1-line block ×4, first 2 shown]
	s_branch .LBB1_4
.LBB1_7:
	s_mov_b32 s2, s24
.LBB1_8:
	s_wait_alu 0xfffe
	v_mad_co_u64_u32 v[6:7], null, s2, s14, v[1:2]
	s_delay_alu instid0(VALU_DEP_1) | instskip(NEXT) | instid1(VALU_DEP_1)
	v_add_nc_u32_e32 v2, s14, v6
	v_ashrrev_i32_e32 v3, 31, v2
	s_delay_alu instid0(VALU_DEP_1) | instskip(SKIP_1) | instid1(VALU_DEP_1)
	v_lshlrev_b64_e32 v[4:5], 2, v[2:3]
	s_wait_kmcnt 0x0
	v_add_co_u32 v2, vcc_lo, s20, v4
	s_wait_alu 0xfffd
	s_delay_alu instid0(VALU_DEP_2) | instskip(SKIP_4) | instid1(VALU_DEP_1)
	v_add_co_ci_u32_e64 v3, null, s21, v5, vcc_lo
	s_mov_b32 s20, exec_lo
	global_load_b32 v8, v[2:3], off
	s_wait_loadcnt 0x0
	v_fma_f32 v9, v8, v8, 0
	v_cmpx_neq_f32_e32 0, v9
	s_cbranch_execz .LBB1_10
; %bb.9:
	v_ashrrev_i32_e32 v7, 31, v6
	v_mad_co_u64_u32 v[12:13], null, s2, s13, v[1:2]
	s_delay_alu instid0(VALU_DEP_2) | instskip(NEXT) | instid1(VALU_DEP_2)
	v_lshlrev_b64_e32 v[6:7], 2, v[6:7]
	v_ashrrev_i32_e32 v13, 31, v12
	s_delay_alu instid0(VALU_DEP_2) | instskip(SKIP_1) | instid1(VALU_DEP_3)
	v_add_co_u32 v10, vcc_lo, s8, v6
	s_wait_alu 0xfffd
	v_add_co_ci_u32_e64 v11, null, s9, v7, vcc_lo
	s_delay_alu instid0(VALU_DEP_3)
	v_lshlrev_b64_e32 v[13:14], 2, v[12:13]
	v_add_co_u32 v15, vcc_lo, s18, v4
	global_load_b32 v29, v[10:11], off
	s_wait_alu 0xfffd
	v_add_co_ci_u32_e64 v16, null, s19, v5, vcc_lo
	v_add_co_u32 v17, vcc_lo, s4, v13
	s_wait_alu 0xfffd
	v_add_co_ci_u32_e64 v18, null, s5, v14, vcc_lo
	global_load_b32 v1, v[15:16], off
	global_load_b32 v30, v[17:18], off
	s_wait_loadcnt 0x2
	v_fma_f32 v19, v29, v29, v9
	s_delay_alu instid0(VALU_DEP_1) | instskip(SKIP_2) | instid1(VALU_DEP_2)
	v_mul_f32_e32 v20, 0x4f800000, v19
	v_cmp_gt_f32_e32 vcc_lo, 0xf800000, v19
	s_wait_alu 0xfffd
	v_cndmask_b32_e32 v22, v19, v20, vcc_lo
	s_delay_alu instid0(VALU_DEP_1) | instskip(NEXT) | instid1(TRANS32_DEP_1)
	v_sqrt_f32_e32 v19, v22
	v_add_nc_u32_e32 v20, -1, v19
	v_add_nc_u32_e32 v21, 1, v19
	s_delay_alu instid0(VALU_DEP_2) | instskip(NEXT) | instid1(VALU_DEP_2)
	v_fma_f32 v23, -v20, v19, v22
	v_fma_f32 v24, -v21, v19, v22
	s_delay_alu instid0(VALU_DEP_2) | instskip(SKIP_1) | instid1(VALU_DEP_1)
	v_cmp_ge_f32_e64 s2, 0, v23
	s_wait_alu 0xf1ff
	v_cndmask_b32_e64 v19, v19, v20, s2
	s_delay_alu instid0(VALU_DEP_3) | instskip(SKIP_1) | instid1(VALU_DEP_1)
	v_cmp_lt_f32_e64 s2, 0, v24
	s_wait_alu 0xf1ff
	v_cndmask_b32_e64 v23, v19, v21, s2
	v_add_nc_u32_e32 v21, s13, v12
	v_add_co_u32 v19, s2, s8, v4
	s_wait_alu 0xf1ff
	v_add_co_ci_u32_e64 v20, null, s9, v5, s2
	v_mul_f32_e32 v24, 0x37800000, v23
	v_add_co_u32 v4, s2, s10, v4
	s_wait_alu 0xf1ff
	v_add_co_ci_u32_e64 v5, null, s11, v5, s2
	s_delay_alu instid0(VALU_DEP_3)
	v_cndmask_b32_e32 v12, v23, v24, vcc_lo
	v_add_co_u32 v23, vcc_lo, s10, v6
	s_wait_alu 0xfffd
	v_add_co_ci_u32_e64 v24, null, s11, v7, vcc_lo
	v_cmp_class_f32_e64 vcc_lo, v22, 0x260
	global_load_b32 v31, v[19:20], off
	s_wait_alu 0xfffd
	v_cndmask_b32_e32 v12, v12, v22, vcc_lo
	v_add_co_u32 v6, vcc_lo, s18, v6
	s_wait_alu 0xfffd
	v_add_co_ci_u32_e64 v7, null, s19, v7, vcc_lo
	v_cmp_lt_f32_e32 vcc_lo, 0, v29
	v_ashrrev_i32_e32 v22, 31, v21
	s_clause 0x1
	global_load_b32 v32, v[4:5], off
	global_load_b32 v33, v[23:24], off
	;; [unrolled: 1-line block ×3, first 2 shown]
	s_wait_alu 0xfffd
	v_cndmask_b32_e64 v12, -v12, v12, vcc_lo
	v_add_co_u32 v25, vcc_lo, s6, v13
	s_wait_alu 0xfffd
	v_add_co_ci_u32_e64 v26, null, s7, v14, vcc_lo
	s_delay_alu instid0(VALU_DEP_3) | instskip(SKIP_3) | instid1(VALU_DEP_3)
	v_add_f32_e32 v35, v29, v12
	v_add_co_u32 v12, vcc_lo, s16, v13
	s_wait_alu 0xfffd
	v_add_co_ci_u32_e64 v13, null, s17, v14, vcc_lo
	v_div_scale_f32 v36, null, v35, v35, v8
	v_lshlrev_b64_e32 v[21:22], 2, v[21:22]
	v_mul_f32_e32 v27, v35, v35
	v_div_scale_f32 v37, null, v35, v35, 0
	s_delay_alu instid0(VALU_DEP_4) | instskip(SKIP_1) | instid1(VALU_DEP_2)
	v_rcp_f32_e32 v14, v36
	v_div_scale_f32 v45, s2, 0, v35, 0
	v_rcp_f32_e32 v38, v37
	global_load_b32 v49, v[25:26], off
	global_load_b32 v50, v[12:13], off
	v_fma_f32 v42, -v36, v14, 1.0
	v_fmac_f32_e32 v9, v35, v35
	v_fma_f32 v43, -v37, v38, 1.0
	s_delay_alu instid0(VALU_DEP_3)
	v_dual_fmac_f32 v14, v42, v14 :: v_dual_add_f32 v39, v27, v27
	v_add_co_u32 v27, vcc_lo, s16, v21
	s_wait_alu 0xfffd
	v_add_co_ci_u32_e64 v28, null, s17, v22, vcc_lo
	v_div_scale_f32 v41, vcc_lo, v8, v35, v8
	v_fmac_f32_e32 v38, v43, v38
	v_add_co_u32 v21, s3, s4, v21
	s_delay_alu instid0(VALU_DEP_3) | instskip(SKIP_1) | instid1(VALU_DEP_4)
	v_mul_f32_e32 v42, v41, v14
	v_div_scale_f32 v40, null, v9, v9, v39
	v_mul_f32_e32 v46, v45, v38
	s_wait_alu 0xf1ff
	v_add_co_ci_u32_e64 v22, null, s5, v22, s3
	s_delay_alu instid0(VALU_DEP_3) | instskip(SKIP_2) | instid1(VALU_DEP_2)
	v_rcp_f32_e32 v44, v40
	v_fma_f32 v48, -v36, v42, v41
	v_div_scale_f32 v47, s3, v39, v9, v39
	v_fmac_f32_e32 v42, v48, v14
	s_delay_alu instid0(TRANS32_DEP_1) | instskip(NEXT) | instid1(VALU_DEP_2)
	v_fma_f32 v43, -v40, v44, 1.0
	v_fma_f32 v36, -v36, v42, v41
	s_delay_alu instid0(VALU_DEP_2) | instskip(SKIP_2) | instid1(VALU_DEP_3)
	v_fmac_f32_e32 v44, v43, v44
	v_fma_f32 v43, -v37, v46, v45
	s_wait_alu 0xfffd
	v_div_fmas_f32 v14, v36, v14, v42
	s_mov_b32 vcc_lo, s2
	s_delay_alu instid0(VALU_DEP_2)
	v_fmac_f32_e32 v46, v43, v38
	global_load_b32 v43, v[27:28], off
	global_load_b32 v51, v[21:22], off
	v_div_fixup_f32 v14, v14, v35, v8
	v_fma_f32 v37, -v37, v46, v45
	global_store_b32 v[2:3], v14, off
	v_fma_f32 v8, v14, v8, v29
	s_wait_alu 0xfffe
	v_div_fmas_f32 v36, v37, v38, v46
	s_mov_b32 vcc_lo, s3
	s_delay_alu instid0(VALU_DEP_1) | instskip(NEXT) | instid1(VALU_DEP_1)
	v_div_fixup_f32 v35, v36, v35, 0
	v_fmac_f32_e32 v8, 0, v35
	s_wait_loadcnt 0x0
	v_fma_f32 v42, v14, v51, v49
	s_delay_alu instid0(VALU_DEP_1) | instskip(SKIP_1) | instid1(VALU_DEP_1)
	v_fmac_f32_e32 v42, 0, v35
	v_mul_f32_e32 v48, v47, v44
	v_fma_f32 v41, -v40, v48, v47
	s_delay_alu instid0(VALU_DEP_1) | instskip(NEXT) | instid1(VALU_DEP_1)
	v_fmac_f32_e32 v48, v41, v44
	v_fma_f32 v37, -v40, v48, v47
	v_fma_f32 v40, v14, v32, v34
	s_wait_alu 0xfffe
	s_delay_alu instid0(VALU_DEP_2) | instskip(SKIP_3) | instid1(VALU_DEP_4)
	v_div_fmas_f32 v36, v37, v44, v48
	v_fma_f32 v37, v14, v1, v30
	v_fma_f32 v44, v14, v43, v50
	v_fmac_f32_e32 v40, 0, v35
	v_div_fixup_f32 v9, v36, v9, v39
	s_delay_alu instid0(VALU_DEP_4) | instskip(NEXT) | instid1(VALU_DEP_4)
	v_fmac_f32_e32 v37, 0, v35
	v_fmac_f32_e32 v44, 0, v35
	s_delay_alu instid0(VALU_DEP_3) | instskip(NEXT) | instid1(VALU_DEP_3)
	v_fma_f32 v8, -v8, v9, v29
	v_fma_f32 v30, -v37, v9, v30
	v_mul_f32_e32 v3, v40, v9
	global_store_b32 v[17:18], v30, off
	global_load_b32 v17, v[21:22], off
	v_fma_f32 v18, v14, v14, 1.0
	v_fma_f32 v3, -v3, v14, v32
	s_delay_alu instid0(VALU_DEP_2) | instskip(NEXT) | instid1(VALU_DEP_1)
	v_fmac_f32_e32 v18, v35, v35
	v_div_scale_f32 v30, null, v18, v18, 2.0
	v_div_scale_f32 v39, vcc_lo, 2.0, v18, 2.0
	s_delay_alu instid0(VALU_DEP_2) | instskip(NEXT) | instid1(TRANS32_DEP_1)
	v_rcp_f32_e32 v36, v30
	v_fma_f32 v38, -v30, v36, 1.0
	s_delay_alu instid0(VALU_DEP_1) | instskip(SKIP_1) | instid1(VALU_DEP_1)
	v_fmac_f32_e32 v36, v38, v36
	v_fma_f32 v38, v14, v31, v33
	v_dual_mul_f32 v41, v39, v36 :: v_dual_fmac_f32 v38, 0, v35
	v_mul_f32_e32 v35, v37, v9
	v_mul_f32_e32 v37, v42, v9
	s_delay_alu instid0(VALU_DEP_3) | instskip(NEXT) | instid1(VALU_DEP_4)
	v_fma_f32 v2, -v30, v41, v39
	v_fma_f32 v29, -v38, v9, v33
	;; [unrolled: 1-line block ×3, first 2 shown]
	global_store_b32 v[10:11], v8, off
	global_store_b32 v[23:24], v29, off
	v_fmac_f32_e32 v41, v2, v36
	v_mul_f32_e32 v2, v38, v9
	global_store_b32 v[6:7], v33, off
	v_fma_f32 v9, -v42, v9, v49
	v_fma_f32 v1, -v35, v14, v1
	;; [unrolled: 1-line block ×4, first 2 shown]
	global_store_b32 v[25:26], v9, off
	s_wait_alu 0xfffd
	v_div_fmas_f32 v30, v30, v36, v41
	global_store_b32 v[19:20], v2, off
	v_div_fixup_f32 v8, v30, v18, 2.0
	s_delay_alu instid0(VALU_DEP_1) | instskip(SKIP_1) | instid1(VALU_DEP_2)
	v_mul_f32_e32 v6, v44, v8
	v_fma_f32 v2, -v44, v8, v50
	v_fma_f32 v6, -v14, v6, v43
	s_wait_loadcnt 0x0
	v_fma_f32 v7, -v37, v14, v17
	global_store_b32 v[4:5], v3, off
	global_store_b32 v[15:16], v1, off
	global_store_b32 v[12:13], v2, off
	global_store_b32 v[21:22], v7, off
	global_store_b32 v[27:28], v6, off
.LBB1_10:
	s_wait_alu 0xfffe
	s_or_b32 exec_lo, exec_lo, s20
.LBB1_11:
	s_cmp_lt_i32 s12, 1
	s_cbranch_scc1 .LBB1_24
; %bb.12:
	v_mad_co_u64_u32 v[1:2], null, s14, s12, v[0:1]
	s_load_b64 s[0:1], s[0:1], 0x38
	s_add_co_i32 s2, s12, 3
	s_wait_alu 0xfffe
	v_mad_co_u64_u32 v[2:3], null, s14, s2, v[0:1]
	s_add_co_i32 s2, s12, 2
	s_wait_alu 0xfffe
	v_mad_co_u64_u32 v[3:4], null, s14, s2, v[0:1]
	;; [unrolled: 3-line block ×3, first 2 shown]
	s_add_co_i32 s2, s12, -1
	s_wait_alu 0xfffe
	v_mad_co_u64_u32 v[5:6], null, s14, s2, v[0:1]
	v_mad_co_u64_u32 v[6:7], null, s13, s2, v[0:1]
	s_mov_b32 s2, s12
	s_branch .LBB1_14
.LBB1_13:                               ;   in Loop: Header=BB1_14 Depth=1
	s_wait_kmcnt 0x0
	v_add_co_u32 v9, vcc_lo, s16, v9
	v_lshlrev_b64_e32 v[7:8], 2, v[7:8]
	s_wait_alu 0xfffd
	v_add_co_ci_u32_e64 v10, null, s17, v10, vcc_lo
	v_subrev_nc_u32_e32 v1, s14, v1
	v_subrev_nc_u32_e32 v2, s14, v2
	;; [unrolled: 1-line block ×3, first 2 shown]
	global_load_b32 v11, v[9:10], off
	v_add_co_u32 v9, vcc_lo, s8, v7
	s_wait_alu 0xfffd
	v_add_co_ci_u32_e64 v10, null, s9, v8, vcc_lo
	v_subrev_nc_u32_e32 v4, s14, v4
	v_subrev_nc_u32_e32 v5, s14, v5
	;; [unrolled: 1-line block ×3, first 2 shown]
	global_load_b32 v9, v[9:10], off
	s_add_co_i32 s3, s2, -1
	s_cmp_gt_u32 s2, 1
	s_wait_alu 0xfffe
	s_mov_b32 s2, s3
	s_wait_loadcnt 0x1
	v_sub_f32_e32 v0, v11, v0
	s_wait_loadcnt 0x0
	s_delay_alu instid0(VALU_DEP_1) | instskip(NEXT) | instid1(VALU_DEP_1)
	v_div_scale_f32 v10, null, v9, v9, v0
	v_rcp_f32_e32 v11, v10
	s_delay_alu instid0(TRANS32_DEP_1) | instskip(NEXT) | instid1(VALU_DEP_1)
	v_fma_f32 v12, -v10, v11, 1.0
	v_fmac_f32_e32 v11, v12, v11
	v_div_scale_f32 v13, vcc_lo, v0, v9, v0
	s_delay_alu instid0(VALU_DEP_1) | instskip(NEXT) | instid1(VALU_DEP_1)
	v_mul_f32_e32 v12, v13, v11
	v_fma_f32 v14, -v10, v12, v13
	s_delay_alu instid0(VALU_DEP_1) | instskip(NEXT) | instid1(VALU_DEP_1)
	v_fmac_f32_e32 v12, v14, v11
	v_fma_f32 v10, -v10, v12, v13
	s_wait_alu 0xfffd
	s_delay_alu instid0(VALU_DEP_1) | instskip(SKIP_3) | instid1(VALU_DEP_3)
	v_div_fmas_f32 v10, v10, v11, v12
	v_add_co_u32 v7, vcc_lo, s0, v7
	s_wait_alu 0xfffd
	v_add_co_ci_u32_e64 v8, null, s1, v8, vcc_lo
	v_div_fixup_f32 v0, v10, v9, v0
	global_store_b32 v[7:8], v0, off
	s_cbranch_scc0 .LBB1_24
.LBB1_14:                               ; =>This Inner Loop Header: Depth=1
	v_dual_mov_b32 v0, 0 :: v_dual_add_nc_u32 v7, s15, v5
	s_wait_alu 0xfffe
	s_cmp_ge_i32 s2, s12
	s_delay_alu instid0(VALU_DEP_1)
	v_ashrrev_i32_e32 v8, 31, v7
	s_cbranch_scc1 .LBB1_16
; %bb.15:                               ;   in Loop: Header=BB1_14 Depth=1
	v_add_nc_u32_e32 v9, s15, v1
	s_delay_alu instid0(VALU_DEP_2) | instskip(NEXT) | instid1(VALU_DEP_2)
	v_lshlrev_b64_e32 v[11:12], 2, v[7:8]
	v_ashrrev_i32_e32 v10, 31, v9
	s_wait_kmcnt 0x0
	s_delay_alu instid0(VALU_DEP_2) | instskip(SKIP_1) | instid1(VALU_DEP_3)
	v_add_co_u32 v11, vcc_lo, s10, v11
	s_wait_alu 0xfffd
	v_add_co_ci_u32_e64 v12, null, s11, v12, vcc_lo
	v_lshlrev_b64_e32 v[9:10], 2, v[9:10]
	s_delay_alu instid0(VALU_DEP_1) | instskip(SKIP_1) | instid1(VALU_DEP_2)
	v_add_co_u32 v9, vcc_lo, s0, v9
	s_wait_alu 0xfffd
	v_add_co_ci_u32_e64 v10, null, s1, v10, vcc_lo
	global_load_b32 v0, v[11:12], off
	global_load_b32 v9, v[9:10], off
	s_wait_loadcnt 0x0
	v_fma_f32 v0, v0, v9, 0
.LBB1_16:                               ;   in Loop: Header=BB1_14 Depth=1
	s_add_co_i32 s3, s2, 1
	s_wait_alu 0xfffe
	s_cmp_ge_i32 s3, s12
	s_cbranch_scc1 .LBB1_18
; %bb.17:                               ;   in Loop: Header=BB1_14 Depth=1
	v_add_nc_u32_e32 v9, s15, v4
	v_lshlrev_b64_e32 v[11:12], 2, v[7:8]
	s_delay_alu instid0(VALU_DEP_2) | instskip(SKIP_1) | instid1(VALU_DEP_2)
	v_ashrrev_i32_e32 v10, 31, v9
	s_wait_kmcnt 0x0
	v_add_co_u32 v11, vcc_lo, s18, v11
	s_wait_alu 0xfffd
	s_delay_alu instid0(VALU_DEP_3) | instskip(SKIP_1) | instid1(VALU_DEP_1)
	v_add_co_ci_u32_e64 v12, null, s19, v12, vcc_lo
	v_lshlrev_b64_e32 v[9:10], 2, v[9:10]
	v_add_co_u32 v9, vcc_lo, s0, v9
	s_wait_alu 0xfffd
	s_delay_alu instid0(VALU_DEP_2)
	v_add_co_ci_u32_e64 v10, null, s1, v10, vcc_lo
	global_load_b32 v11, v[11:12], off
	global_load_b32 v9, v[9:10], off
	s_wait_loadcnt 0x0
	v_fmac_f32_e32 v0, v11, v9
.LBB1_18:                               ;   in Loop: Header=BB1_14 Depth=1
	v_add_nc_u32_e32 v9, s15, v6
	s_add_co_i32 s3, s3, 1
	s_mov_b32 s20, -1
	s_wait_alu 0xfffe
	s_cmp_lt_i32 s3, s12
	s_cbranch_scc0 .LBB1_21
; %bb.19:                               ;   in Loop: Header=BB1_14 Depth=1
	s_and_not1_b32 vcc_lo, exec_lo, s20
	s_wait_alu 0xfffe
	s_cbranch_vccz .LBB1_22
.LBB1_20:                               ;   in Loop: Header=BB1_14 Depth=1
	s_delay_alu instid0(VALU_DEP_1)
	v_lshlrev_b64_e32 v[9:10], 2, v[9:10]
	s_add_co_i32 s3, s3, 1
	s_wait_alu 0xfffe
	s_cmp_ge_i32 s3, s12
	s_cbranch_scc1 .LBB1_13
	s_branch .LBB1_23
.LBB1_21:                               ;   in Loop: Header=BB1_14 Depth=1
	v_ashrrev_i32_e32 v10, 31, v9
	s_cbranch_execnz .LBB1_20
.LBB1_22:                               ;   in Loop: Header=BB1_14 Depth=1
	v_add_nc_u32_e32 v11, s15, v3
	v_ashrrev_i32_e32 v10, 31, v9
	s_delay_alu instid0(VALU_DEP_2) | instskip(NEXT) | instid1(VALU_DEP_2)
	v_ashrrev_i32_e32 v12, 31, v11
	v_lshlrev_b64_e32 v[13:14], 2, v[9:10]
	s_delay_alu instid0(VALU_DEP_2) | instskip(SKIP_1) | instid1(VALU_DEP_2)
	v_lshlrev_b64_e32 v[11:12], 2, v[11:12]
	s_wait_kmcnt 0x0
	v_add_co_u32 v13, vcc_lo, s4, v13
	s_wait_alu 0xfffd
	s_delay_alu instid0(VALU_DEP_3) | instskip(NEXT) | instid1(VALU_DEP_3)
	v_add_co_ci_u32_e64 v14, null, s5, v14, vcc_lo
	v_add_co_u32 v11, vcc_lo, s0, v11
	s_wait_alu 0xfffd
	v_add_co_ci_u32_e64 v12, null, s1, v12, vcc_lo
	global_load_b32 v13, v[13:14], off
	global_load_b32 v11, v[11:12], off
	s_wait_loadcnt 0x0
	v_fmac_f32_e32 v0, v13, v11
	v_lshlrev_b64_e32 v[9:10], 2, v[9:10]
	s_add_co_i32 s3, s3, 1
	s_wait_alu 0xfffe
	s_cmp_ge_i32 s3, s12
	s_cbranch_scc1 .LBB1_13
.LBB1_23:                               ;   in Loop: Header=BB1_14 Depth=1
	v_add_nc_u32_e32 v11, s15, v2
	s_wait_kmcnt 0x0
	v_add_co_u32 v13, vcc_lo, s6, v9
	s_wait_alu 0xfffd
	v_add_co_ci_u32_e64 v14, null, s7, v10, vcc_lo
	v_ashrrev_i32_e32 v12, 31, v11
	s_delay_alu instid0(VALU_DEP_1) | instskip(NEXT) | instid1(VALU_DEP_1)
	v_lshlrev_b64_e32 v[11:12], 2, v[11:12]
	v_add_co_u32 v11, vcc_lo, s0, v11
	s_wait_alu 0xfffd
	s_delay_alu instid0(VALU_DEP_2)
	v_add_co_ci_u32_e64 v12, null, s1, v12, vcc_lo
	global_load_b32 v13, v[13:14], off
	global_load_b32 v11, v[11:12], off
	s_wait_loadcnt 0x0
	v_fmac_f32_e32 v0, v13, v11
	s_branch .LBB1_13
.LBB1_24:
	s_endpgm
	.section	.rodata,"a",@progbits
	.p2align	6, 0x0
	.amdhsa_kernel _ZN9rocsparseL44gpsv_interleaved_batch_householder_qr_kernelILj256EfEEviiiPT0_S2_S2_S2_S2_S2_S2_S2_S2_
		.amdhsa_group_segment_fixed_size 0
		.amdhsa_private_segment_fixed_size 0
		.amdhsa_kernarg_size 344
		.amdhsa_user_sgpr_count 2
		.amdhsa_user_sgpr_dispatch_ptr 0
		.amdhsa_user_sgpr_queue_ptr 0
		.amdhsa_user_sgpr_kernarg_segment_ptr 1
		.amdhsa_user_sgpr_dispatch_id 0
		.amdhsa_user_sgpr_private_segment_size 0
		.amdhsa_wavefront_size32 1
		.amdhsa_uses_dynamic_stack 0
		.amdhsa_enable_private_segment 0
		.amdhsa_system_sgpr_workgroup_id_x 1
		.amdhsa_system_sgpr_workgroup_id_y 0
		.amdhsa_system_sgpr_workgroup_id_z 0
		.amdhsa_system_sgpr_workgroup_info 0
		.amdhsa_system_vgpr_workitem_id 0
		.amdhsa_next_free_vgpr 78
		.amdhsa_next_free_sgpr 27
		.amdhsa_reserve_vcc 1
		.amdhsa_float_round_mode_32 0
		.amdhsa_float_round_mode_16_64 0
		.amdhsa_float_denorm_mode_32 3
		.amdhsa_float_denorm_mode_16_64 3
		.amdhsa_fp16_overflow 0
		.amdhsa_workgroup_processor_mode 1
		.amdhsa_memory_ordered 1
		.amdhsa_forward_progress 1
		.amdhsa_inst_pref_size 35
		.amdhsa_round_robin_scheduling 0
		.amdhsa_exception_fp_ieee_invalid_op 0
		.amdhsa_exception_fp_denorm_src 0
		.amdhsa_exception_fp_ieee_div_zero 0
		.amdhsa_exception_fp_ieee_overflow 0
		.amdhsa_exception_fp_ieee_underflow 0
		.amdhsa_exception_fp_ieee_inexact 0
		.amdhsa_exception_int_div_zero 0
	.end_amdhsa_kernel
	.section	.text._ZN9rocsparseL44gpsv_interleaved_batch_householder_qr_kernelILj256EfEEviiiPT0_S2_S2_S2_S2_S2_S2_S2_S2_,"axG",@progbits,_ZN9rocsparseL44gpsv_interleaved_batch_householder_qr_kernelILj256EfEEviiiPT0_S2_S2_S2_S2_S2_S2_S2_S2_,comdat
.Lfunc_end1:
	.size	_ZN9rocsparseL44gpsv_interleaved_batch_householder_qr_kernelILj256EfEEviiiPT0_S2_S2_S2_S2_S2_S2_S2_S2_, .Lfunc_end1-_ZN9rocsparseL44gpsv_interleaved_batch_householder_qr_kernelILj256EfEEviiiPT0_S2_S2_S2_S2_S2_S2_S2_S2_
                                        ; -- End function
	.set _ZN9rocsparseL44gpsv_interleaved_batch_householder_qr_kernelILj256EfEEviiiPT0_S2_S2_S2_S2_S2_S2_S2_S2_.num_vgpr, 78
	.set _ZN9rocsparseL44gpsv_interleaved_batch_householder_qr_kernelILj256EfEEviiiPT0_S2_S2_S2_S2_S2_S2_S2_S2_.num_agpr, 0
	.set _ZN9rocsparseL44gpsv_interleaved_batch_householder_qr_kernelILj256EfEEviiiPT0_S2_S2_S2_S2_S2_S2_S2_S2_.numbered_sgpr, 27
	.set _ZN9rocsparseL44gpsv_interleaved_batch_householder_qr_kernelILj256EfEEviiiPT0_S2_S2_S2_S2_S2_S2_S2_S2_.num_named_barrier, 0
	.set _ZN9rocsparseL44gpsv_interleaved_batch_householder_qr_kernelILj256EfEEviiiPT0_S2_S2_S2_S2_S2_S2_S2_S2_.private_seg_size, 0
	.set _ZN9rocsparseL44gpsv_interleaved_batch_householder_qr_kernelILj256EfEEviiiPT0_S2_S2_S2_S2_S2_S2_S2_S2_.uses_vcc, 1
	.set _ZN9rocsparseL44gpsv_interleaved_batch_householder_qr_kernelILj256EfEEviiiPT0_S2_S2_S2_S2_S2_S2_S2_S2_.uses_flat_scratch, 0
	.set _ZN9rocsparseL44gpsv_interleaved_batch_householder_qr_kernelILj256EfEEviiiPT0_S2_S2_S2_S2_S2_S2_S2_S2_.has_dyn_sized_stack, 0
	.set _ZN9rocsparseL44gpsv_interleaved_batch_householder_qr_kernelILj256EfEEviiiPT0_S2_S2_S2_S2_S2_S2_S2_S2_.has_recursion, 0
	.set _ZN9rocsparseL44gpsv_interleaved_batch_householder_qr_kernelILj256EfEEviiiPT0_S2_S2_S2_S2_S2_S2_S2_S2_.has_indirect_call, 0
	.section	.AMDGPU.csdata,"",@progbits
; Kernel info:
; codeLenInByte = 4380
; TotalNumSgprs: 29
; NumVgprs: 78
; ScratchSize: 0
; MemoryBound: 0
; FloatMode: 240
; IeeeMode: 1
; LDSByteSize: 0 bytes/workgroup (compile time only)
; SGPRBlocks: 0
; VGPRBlocks: 9
; NumSGPRsForWavesPerEU: 29
; NumVGPRsForWavesPerEU: 78
; Occupancy: 16
; WaveLimiterHint : 0
; COMPUTE_PGM_RSRC2:SCRATCH_EN: 0
; COMPUTE_PGM_RSRC2:USER_SGPR: 2
; COMPUTE_PGM_RSRC2:TRAP_HANDLER: 0
; COMPUTE_PGM_RSRC2:TGID_X_EN: 1
; COMPUTE_PGM_RSRC2:TGID_Y_EN: 0
; COMPUTE_PGM_RSRC2:TGID_Z_EN: 0
; COMPUTE_PGM_RSRC2:TIDIG_COMP_CNT: 0
	.section	.text._ZN9rocsparseL39gpsv_interleaved_batch_givens_qr_kernelILj128EfEEviiiPT0_S2_S2_S2_S2_S2_S2_S2_,"axG",@progbits,_ZN9rocsparseL39gpsv_interleaved_batch_givens_qr_kernelILj128EfEEviiiPT0_S2_S2_S2_S2_S2_S2_S2_,comdat
	.globl	_ZN9rocsparseL39gpsv_interleaved_batch_givens_qr_kernelILj128EfEEviiiPT0_S2_S2_S2_S2_S2_S2_S2_ ; -- Begin function _ZN9rocsparseL39gpsv_interleaved_batch_givens_qr_kernelILj128EfEEviiiPT0_S2_S2_S2_S2_S2_S2_S2_
	.p2align	8
	.type	_ZN9rocsparseL39gpsv_interleaved_batch_givens_qr_kernelILj128EfEEviiiPT0_S2_S2_S2_S2_S2_S2_S2_,@function
_ZN9rocsparseL39gpsv_interleaved_batch_givens_qr_kernelILj128EfEEviiiPT0_S2_S2_S2_S2_S2_S2_S2_: ; @_ZN9rocsparseL39gpsv_interleaved_batch_givens_qr_kernelILj128EfEEviiiPT0_S2_S2_S2_S2_S2_S2_S2_
; %bb.0:
	s_load_b96 s[16:18], s[0:1], 0x0
	s_lshl_b32 s19, ttmp9, 7
	s_mov_b32 s2, exec_lo
	v_or_b32_e32 v1, s19, v0
	s_wait_kmcnt 0x0
	s_delay_alu instid0(VALU_DEP_1)
	v_cmpx_gt_i32_e64 s17, v1
	s_cbranch_execz .LBB2_7
; %bb.1:
	s_clause 0x2
	s_load_b64 s[2:3], s[0:1], 0x48
	s_load_b128 s[12:15], s[0:1], 0x38
	s_load_b256 s[4:11], s[0:1], 0x18
	s_add_co_i32 s22, s16, -2
	s_cmp_lt_i32 s16, 3
	s_cbranch_scc1 .LBB2_4
; %bb.2:
	s_load_b64 s[20:21], s[0:1], 0x10
	v_dual_mov_b32 v3, v1 :: v_dual_mov_b32 v2, v1
	s_lshl_b32 s1, s18, 1
	s_mov_b32 s23, s22
.LBB2_3:                                ; =>This Inner Loop Header: Depth=1
	s_delay_alu instid0(VALU_DEP_1) | instskip(SKIP_2) | instid1(SALU_CYCLE_1)
	v_add_nc_u32_e32 v4, s1, v3
	v_add_nc_u32_e32 v6, s18, v3
	s_add_co_i32 s23, s23, -1
	s_cmp_eq_u32 s23, 0
	s_delay_alu instid0(VALU_DEP_2) | instskip(NEXT) | instid1(VALU_DEP_2)
	v_ashrrev_i32_e32 v5, 31, v4
	v_ashrrev_i32_e32 v7, 31, v6
	s_delay_alu instid0(VALU_DEP_2) | instskip(NEXT) | instid1(VALU_DEP_2)
	v_lshlrev_b64_e32 v[4:5], 2, v[4:5]
	v_lshlrev_b64_e32 v[7:8], 2, v[6:7]
	s_wait_kmcnt 0x0
	s_delay_alu instid0(VALU_DEP_2) | instskip(SKIP_1) | instid1(VALU_DEP_3)
	v_add_co_u32 v9, vcc_lo, s20, v4
	s_wait_alu 0xfffd
	v_add_co_ci_u32_e64 v10, null, s21, v5, vcc_lo
	s_delay_alu instid0(VALU_DEP_3)
	v_add_co_u32 v11, vcc_lo, s4, v7
	s_wait_alu 0xfffd
	v_add_co_ci_u32_e64 v12, null, s5, v8, vcc_lo
	global_load_b32 v39, v[9:10], off
	global_load_b32 v40, v[11:12], off
	v_add_co_u32 v9, vcc_lo, s4, v4
	s_wait_alu 0xfffd
	v_add_co_ci_u32_e64 v10, null, s5, v5, vcc_lo
	v_add_co_u32 v13, vcc_lo, s6, v7
	s_wait_alu 0xfffd
	v_add_co_ci_u32_e64 v14, null, s7, v8, vcc_lo
	v_add_co_u32 v15, vcc_lo, s6, v4
	s_wait_alu 0xfffd
	v_add_co_ci_u32_e64 v16, null, s7, v5, vcc_lo
	v_add_co_u32 v17, vcc_lo, s8, v7
	s_wait_alu 0xfffd
	v_add_co_ci_u32_e64 v18, null, s9, v8, vcc_lo
	global_load_b32 v41, v[15:16], off
	global_load_b32 v42, v[9:10], off
	;; [unrolled: 1-line block ×4, first 2 shown]
	v_add_co_u32 v19, vcc_lo, s8, v4
	s_wait_alu 0xfffd
	v_add_co_ci_u32_e64 v20, null, s9, v5, vcc_lo
	v_add_co_u32 v21, vcc_lo, s10, v7
	s_wait_alu 0xfffd
	v_add_co_ci_u32_e64 v22, null, s11, v8, vcc_lo
	;; [unrolled: 3-line block ×3, first 2 shown]
	v_add_co_u32 v25, vcc_lo, s2, v4
	v_ashrrev_i32_e32 v4, 31, v3
	s_wait_alu 0xfffd
	v_add_co_ci_u32_e64 v26, null, s3, v5, vcc_lo
	v_add_co_u32 v7, vcc_lo, s2, v7
	s_delay_alu instid0(VALU_DEP_3)
	v_lshlrev_b64_e32 v[4:5], 2, v[3:4]
	s_wait_alu 0xfffd
	v_add_co_ci_u32_e64 v8, null, s3, v8, vcc_lo
	global_load_b32 v45, v[19:20], off
	global_load_b32 v46, v[23:24], off
	s_clause 0x1
	global_load_b32 v47, v[25:26], off
	global_load_b32 v48, v[7:8], off
	;; [unrolled: 1-line block ×3, first 2 shown]
	v_add_co_u32 v27, vcc_lo, s6, v4
	s_wait_alu 0xfffd
	v_add_co_ci_u32_e64 v28, null, s7, v5, vcc_lo
	s_wait_loadcnt 0xa
	v_mul_f32_e32 v3, v39, v39
	s_wait_loadcnt 0x9
	s_delay_alu instid0(VALU_DEP_1) | instskip(NEXT) | instid1(VALU_DEP_1)
	v_fmac_f32_e32 v3, v40, v40
	v_mul_f32_e32 v29, 0x4f800000, v3
	v_cmp_gt_f32_e32 vcc_lo, 0xf800000, v3
	s_wait_alu 0xfffd
	s_delay_alu instid0(VALU_DEP_2) | instskip(NEXT) | instid1(VALU_DEP_1)
	v_cndmask_b32_e32 v3, v3, v29, vcc_lo
	v_sqrt_f32_e32 v29, v3
	s_delay_alu instid0(TRANS32_DEP_1) | instskip(SKIP_1) | instid1(VALU_DEP_2)
	v_add_nc_u32_e32 v30, -1, v29
	v_add_nc_u32_e32 v31, 1, v29
	v_fma_f32 v32, -v30, v29, v3
	s_delay_alu instid0(VALU_DEP_2) | instskip(NEXT) | instid1(VALU_DEP_2)
	v_fma_f32 v33, -v31, v29, v3
	v_cmp_ge_f32_e64 s0, 0, v32
	s_wait_alu 0xf1ff
	s_delay_alu instid0(VALU_DEP_1) | instskip(NEXT) | instid1(VALU_DEP_3)
	v_cndmask_b32_e64 v29, v29, v30, s0
	v_cmp_lt_f32_e64 s0, 0, v33
	s_wait_alu 0xf1ff
	s_delay_alu instid0(VALU_DEP_1) | instskip(NEXT) | instid1(VALU_DEP_1)
	v_cndmask_b32_e64 v29, v29, v31, s0
	v_mul_f32_e32 v30, 0x37800000, v29
	s_delay_alu instid0(VALU_DEP_1) | instskip(SKIP_2) | instid1(VALU_DEP_2)
	v_cndmask_b32_e32 v29, v29, v30, vcc_lo
	v_cmp_class_f32_e64 vcc_lo, v3, 0x260
	s_wait_alu 0xfffd
	v_cndmask_b32_e32 v3, v29, v3, vcc_lo
	s_delay_alu instid0(VALU_DEP_1) | instskip(SKIP_2) | instid1(VALU_DEP_3)
	v_div_scale_f32 v31, null, v3, v3, v39
	v_div_scale_f32 v29, null, v3, v3, v40
	v_div_scale_f32 v32, s0, v39, v3, v39
	v_rcp_f32_e32 v34, v31
	s_delay_alu instid0(VALU_DEP_2) | instskip(SKIP_1) | instid1(TRANS32_DEP_2)
	v_rcp_f32_e32 v33, v29
	v_div_scale_f32 v30, vcc_lo, v40, v3, v40
	v_fma_f32 v36, -v31, v34, 1.0
	s_delay_alu instid0(TRANS32_DEP_1) | instskip(NEXT) | instid1(VALU_DEP_2)
	v_fma_f32 v35, -v29, v33, 1.0
	v_fmac_f32_e32 v34, v36, v34
	s_delay_alu instid0(VALU_DEP_1) | instskip(NEXT) | instid1(VALU_DEP_1)
	v_mul_f32_e32 v36, v32, v34
	v_fma_f32 v38, -v31, v36, v32
	s_delay_alu instid0(VALU_DEP_1) | instskip(NEXT) | instid1(VALU_DEP_1)
	v_dual_fmac_f32 v33, v35, v33 :: v_dual_fmac_f32 v36, v38, v34
	v_mul_f32_e32 v35, v30, v33
	s_delay_alu instid0(VALU_DEP_1) | instskip(NEXT) | instid1(VALU_DEP_1)
	v_fma_f32 v37, -v29, v35, v30
	v_fmac_f32_e32 v35, v37, v33
	s_delay_alu instid0(VALU_DEP_1) | instskip(SKIP_2) | instid1(VALU_DEP_2)
	v_fma_f32 v29, -v29, v35, v30
	v_fma_f32 v30, -v31, v36, v32
	s_wait_alu 0xfffd
	v_div_fmas_f32 v29, v29, v33, v35
	s_mov_b32 vcc_lo, s0
	s_wait_alu 0xfffe
	v_div_fmas_f32 v30, v30, v34, v36
	v_add_co_u32 v31, vcc_lo, s8, v4
	v_div_fixup_f32 v50, v29, v3, v40
	s_wait_alu 0xfffd
	v_add_co_ci_u32_e64 v32, null, s9, v5, vcc_lo
	v_div_fixup_f32 v51, v30, v3, v39
	v_add_co_u32 v33, vcc_lo, s10, v4
	s_wait_loadcnt 0x8
	v_mul_f32_e32 v3, v41, v50
	s_wait_alu 0xfffd
	v_add_co_ci_u32_e64 v34, null, s11, v5, vcc_lo
	s_wait_loadcnt 0x7
	v_mul_f32_e32 v52, v42, v51
	v_mul_f32_e32 v41, v41, v51
	s_wait_loadcnt 0x5
	v_fma_f32 v3, -v44, v51, v3
	s_delay_alu instid0(VALU_DEP_3)
	v_fmac_f32_e32 v52, v43, v50
	s_clause 0x1
	global_store_b32 v[13:14], v52, off
	global_store_b32 v[15:16], v3, off
	global_load_b32 v53, v[27:28], off
	v_add_nc_u32_e32 v15, s17, v2
	v_ashrrev_i32_e32 v3, 31, v2
	s_delay_alu instid0(VALU_DEP_2) | instskip(NEXT) | instid1(VALU_DEP_2)
	v_ashrrev_i32_e32 v16, 31, v15
	v_lshlrev_b64_e32 v[29:30], 2, v[2:3]
	s_delay_alu instid0(VALU_DEP_2) | instskip(SKIP_2) | instid1(VALU_DEP_3)
	v_lshlrev_b64_e32 v[2:3], 2, v[15:16]
	s_wait_loadcnt 0x3
	v_mul_f32_e32 v16, v50, v47
	v_add_co_u32 v35, vcc_lo, s12, v29
	s_wait_alu 0xfffd
	v_add_co_ci_u32_e64 v36, null, s13, v30, vcc_lo
	v_add_co_u32 v4, vcc_lo, s2, v4
	s_wait_alu 0xfffd
	v_add_co_ci_u32_e64 v5, null, s3, v5, vcc_lo
	v_add_co_u32 v37, vcc_lo, s12, v2
	v_mul_f32_e32 v2, v50, v45
	v_mul_f32_e32 v45, v51, v45
	s_wait_alu 0xfffd
	v_add_co_ci_u32_e64 v38, null, s13, v3, vcc_lo
	v_mul_f32_e32 v3, v50, v46
	v_mul_f32_e32 v46, v51, v46
	;; [unrolled: 1-line block ×3, first 2 shown]
	v_fmac_f32_e32 v41, v44, v50
	s_wait_loadcnt 0x1
	v_fma_f32 v2, -v49, v51, v2
	v_fmac_f32_e32 v45, v49, v50
	global_store_b32 v[37:38], v46, off
	v_fmac_f32_e32 v47, v48, v50
	v_fma_f32 v16, -v48, v51, v16
	global_load_b32 v44, v[35:36], off
	s_clause 0x1
	global_store_b32 v[17:18], v41, off
	global_store_b32 v[19:20], v2, off
	s_clause 0x1
	global_store_b32 v[21:22], v45, off
	global_store_b32 v[23:24], v3, off
	;; [unrolled: 3-line block ×3, first 2 shown]
	global_load_b32 v19, v[7:8], off
	global_load_b32 v20, v[31:32], off
	;; [unrolled: 1-line block ×4, first 2 shown]
	v_mul_f32_e32 v25, v39, v51
	s_delay_alu instid0(VALU_DEP_1) | instskip(NEXT) | instid1(VALU_DEP_1)
	v_fmac_f32_e32 v25, v40, v50
	v_mul_f32_e32 v26, v25, v25
	v_mov_b32_e32 v2, v15
	v_add_co_u32 v15, vcc_lo, s14, v29
	s_wait_alu 0xfffd
	v_add_co_ci_u32_e64 v16, null, s15, v30, vcc_lo
	s_wait_loadcnt 0x5
	v_dual_fmac_f32 v26, v53, v53 :: v_dual_mov_b32 v3, v6
	v_mul_f32_e32 v6, v42, v50
	s_delay_alu instid0(VALU_DEP_2) | instskip(NEXT) | instid1(VALU_DEP_2)
	v_cmp_gt_f32_e32 vcc_lo, 0xf800000, v26
	v_fma_f32 v6, -v43, v51, v6
	s_clause 0x1
	global_store_b32 v[11:12], v25, off
	global_store_b32 v[9:10], v6, off
	v_mul_f32_e32 v6, 0x4f800000, v26
	s_wait_alu 0xfffd
	s_delay_alu instid0(VALU_DEP_1) | instskip(NEXT) | instid1(VALU_DEP_1)
	v_cndmask_b32_e32 v6, v26, v6, vcc_lo
	v_sqrt_f32_e32 v9, v6
	s_delay_alu instid0(TRANS32_DEP_1) | instskip(SKIP_1) | instid1(VALU_DEP_2)
	v_add_nc_u32_e32 v10, -1, v9
	v_add_nc_u32_e32 v11, 1, v9
	v_fma_f32 v12, -v10, v9, v6
	s_delay_alu instid0(VALU_DEP_2) | instskip(NEXT) | instid1(VALU_DEP_2)
	v_fma_f32 v26, -v11, v9, v6
	v_cmp_ge_f32_e64 s0, 0, v12
	s_wait_alu 0xf1ff
	s_delay_alu instid0(VALU_DEP_1) | instskip(NEXT) | instid1(VALU_DEP_3)
	v_cndmask_b32_e64 v9, v9, v10, s0
	v_cmp_lt_f32_e64 s0, 0, v26
	s_wait_alu 0xf1ff
	s_delay_alu instid0(VALU_DEP_1) | instskip(NEXT) | instid1(VALU_DEP_1)
	v_cndmask_b32_e64 v9, v9, v11, s0
	v_mul_f32_e32 v10, 0x37800000, v9
	s_delay_alu instid0(VALU_DEP_1) | instskip(SKIP_2) | instid1(VALU_DEP_2)
	v_cndmask_b32_e32 v9, v9, v10, vcc_lo
	v_cmp_class_f32_e64 vcc_lo, v6, 0x260
	s_wait_alu 0xfffd
	v_cndmask_b32_e32 v6, v9, v6, vcc_lo
	s_delay_alu instid0(VALU_DEP_1) | instskip(SKIP_1) | instid1(VALU_DEP_2)
	v_div_scale_f32 v9, null, v6, v6, v53
	v_div_scale_f32 v10, vcc_lo, v53, v6, v53
	v_rcp_f32_e32 v26, v9
	s_delay_alu instid0(TRANS32_DEP_1) | instskip(NEXT) | instid1(VALU_DEP_1)
	v_fma_f32 v30, -v9, v26, 1.0
	v_fmac_f32_e32 v26, v30, v26
	s_delay_alu instid0(VALU_DEP_1) | instskip(NEXT) | instid1(VALU_DEP_1)
	v_mul_f32_e32 v30, v10, v26
	v_fma_f32 v40, -v9, v30, v10
	s_delay_alu instid0(VALU_DEP_1) | instskip(NEXT) | instid1(VALU_DEP_1)
	v_fmac_f32_e32 v30, v40, v26
	v_fma_f32 v9, -v9, v30, v10
	s_wait_alu 0xfffd
	s_delay_alu instid0(VALU_DEP_1) | instskip(NEXT) | instid1(VALU_DEP_1)
	v_div_fmas_f32 v9, v9, v26, v30
	v_div_fixup_f32 v9, v9, v6, v53
	s_delay_alu instid0(VALU_DEP_1) | instskip(SKIP_4) | instid1(TRANS32_DEP_1)
	v_mul_f32_e32 v26, v46, v9
	v_div_scale_f32 v11, null, v6, v6, v25
	v_div_scale_f32 v12, s0, v25, v6, v25
	s_mov_b32 vcc_lo, s0
	v_rcp_f32_e32 v29, v11
	v_fma_f32 v39, -v11, v29, 1.0
	s_delay_alu instid0(VALU_DEP_1) | instskip(NEXT) | instid1(VALU_DEP_1)
	v_fmac_f32_e32 v29, v39, v29
	v_mul_f32_e32 v39, v12, v29
	s_delay_alu instid0(VALU_DEP_1) | instskip(NEXT) | instid1(VALU_DEP_1)
	v_fma_f32 v42, -v11, v39, v12
	v_fmac_f32_e32 v39, v42, v29
	s_delay_alu instid0(VALU_DEP_1) | instskip(SKIP_2) | instid1(VALU_DEP_2)
	v_fma_f32 v10, -v11, v39, v12
	v_mul_f32_e32 v12, v45, v9
	s_wait_alu 0xfffe
	v_div_fmas_f32 v10, v10, v29, v39
	s_wait_loadcnt 0x3
	v_mul_f32_e32 v29, v9, v19
	s_delay_alu instid0(VALU_DEP_2) | instskip(SKIP_2) | instid1(VALU_DEP_3)
	v_div_fixup_f32 v6, v10, v6, v25
	v_mul_f32_e32 v11, v41, v9
	v_mul_f32_e32 v10, v52, v9
	;; [unrolled: 1-line block ×4, first 2 shown]
	v_dual_mul_f32 v40, v45, v6 :: v_dual_mul_f32 v19, v6, v19
	v_mul_f32_e32 v39, v41, v6
	s_wait_loadcnt 0x2
	v_dual_mul_f32 v41, v46, v6 :: v_dual_fmac_f32 v30, v20, v9
	v_fmac_f32_e32 v25, v53, v9
	v_fma_f32 v10, -v20, v6, v10
	s_wait_loadcnt 0x1
	v_fma_f32 v11, -v23, v6, v11
	v_fmac_f32_e32 v40, v44, v9
	v_fmac_f32_e32 v39, v23, v9
	v_fma_f32 v12, -v44, v6, v12
	s_wait_loadcnt 0x0
	v_fma_f32 v6, -v24, v6, v29
	global_store_b32 v[15:16], v41, off
	v_fmac_f32_e32 v19, v24, v9
	s_clause 0x1
	global_store_b32 v[27:28], v25, off
	global_store_b32 v[13:14], v10, off
	s_clause 0x1
	global_store_b32 v[31:32], v30, off
	global_store_b32 v[17:18], v11, off
	;; [unrolled: 3-line block ×5, first 2 shown]
	s_cbranch_scc0 .LBB2_3
.LBB2_4:
	s_add_co_i32 s0, s16, -1
	s_wait_alu 0xfffe
	s_mul_i32 s1, s18, s0
	s_wait_alu 0xfffe
	v_add_nc_u32_e32 v2, s1, v1
	s_sub_co_i32 s20, s1, s18
	s_wait_alu 0xfffe
	v_add_nc_u32_e32 v4, s20, v1
	s_delay_alu instid0(VALU_DEP_2) | instskip(NEXT) | instid1(VALU_DEP_2)
	v_ashrrev_i32_e32 v3, 31, v2
	v_ashrrev_i32_e32 v5, 31, v4
	s_delay_alu instid0(VALU_DEP_2) | instskip(NEXT) | instid1(VALU_DEP_2)
	v_lshlrev_b64_e32 v[2:3], 2, v[2:3]
	v_lshlrev_b64_e32 v[4:5], 2, v[4:5]
	s_wait_kmcnt 0x0
	s_delay_alu instid0(VALU_DEP_2) | instskip(SKIP_1) | instid1(VALU_DEP_3)
	v_add_co_u32 v6, vcc_lo, s4, v2
	s_wait_alu 0xfffd
	v_add_co_ci_u32_e64 v7, null, s5, v3, vcc_lo
	s_delay_alu instid0(VALU_DEP_3)
	v_add_co_u32 v8, vcc_lo, s6, v4
	s_wait_alu 0xfffd
	v_add_co_ci_u32_e64 v9, null, s7, v5, vcc_lo
	global_load_b32 v18, v[6:7], off
	global_load_b32 v19, v[8:9], off
	v_add_co_u32 v6, vcc_lo, s6, v2
	s_wait_alu 0xfffd
	v_add_co_ci_u32_e64 v7, null, s7, v3, vcc_lo
	v_add_co_u32 v10, vcc_lo, s2, v2
	s_wait_alu 0xfffd
	v_add_co_ci_u32_e64 v11, null, s3, v3, vcc_lo
	;; [unrolled: 3-line block ×4, first 2 shown]
	global_load_b32 v20, v[6:7], off
	global_load_b32 v21, v[10:11], off
	;; [unrolled: 1-line block ×4, first 2 shown]
	v_add_co_u32 v16, vcc_lo, s8, v2
	s_wait_alu 0xfffd
	v_add_co_ci_u32_e64 v17, null, s9, v3, vcc_lo
	v_add_co_u32 v4, vcc_lo, s10, v4
	s_wait_alu 0xfffd
	v_add_co_ci_u32_e64 v5, null, s11, v5, vcc_lo
	global_load_b32 v25, v[16:17], off
	s_sub_co_i32 s4, s20, s18
	global_load_b32 v27, v[4:5], off
	s_wait_loadcnt 0x7
	v_mul_f32_e32 v24, v18, v18
	s_wait_loadcnt 0x6
	s_delay_alu instid0(VALU_DEP_1) | instskip(NEXT) | instid1(VALU_DEP_1)
	v_fmac_f32_e32 v24, v19, v19
	v_mul_f32_e32 v26, 0x4f800000, v24
	v_cmp_gt_f32_e32 vcc_lo, 0xf800000, v24
	s_wait_alu 0xfffd
	s_delay_alu instid0(VALU_DEP_2) | instskip(NEXT) | instid1(VALU_DEP_1)
	v_cndmask_b32_e32 v24, v24, v26, vcc_lo
	v_sqrt_f32_e32 v26, v24
	s_delay_alu instid0(TRANS32_DEP_1) | instskip(SKIP_1) | instid1(VALU_DEP_2)
	v_add_nc_u32_e32 v28, -1, v26
	v_add_nc_u32_e32 v29, 1, v26
	v_fma_f32 v30, -v28, v26, v24
	s_delay_alu instid0(VALU_DEP_2) | instskip(NEXT) | instid1(VALU_DEP_2)
	v_fma_f32 v31, -v29, v26, v24
	v_cmp_ge_f32_e64 s0, 0, v30
	s_wait_alu 0xf1ff
	s_delay_alu instid0(VALU_DEP_1) | instskip(NEXT) | instid1(VALU_DEP_3)
	v_cndmask_b32_e64 v26, v26, v28, s0
	v_cmp_lt_f32_e64 s0, 0, v31
	s_wait_alu 0xf1ff
	s_delay_alu instid0(VALU_DEP_1) | instskip(NEXT) | instid1(VALU_DEP_1)
	v_cndmask_b32_e64 v26, v26, v29, s0
	v_mul_f32_e32 v28, 0x37800000, v26
	s_delay_alu instid0(VALU_DEP_1) | instskip(SKIP_2) | instid1(VALU_DEP_2)
	v_cndmask_b32_e32 v26, v26, v28, vcc_lo
	v_cmp_class_f32_e64 vcc_lo, v24, 0x260
	s_wait_alu 0xfffd
	v_cndmask_b32_e32 v24, v26, v24, vcc_lo
	s_delay_alu instid0(VALU_DEP_1) | instskip(SKIP_2) | instid1(VALU_DEP_3)
	v_div_scale_f32 v26, null, v24, v24, v19
	v_div_scale_f32 v28, null, v24, v24, v18
	v_div_scale_f32 v33, vcc_lo, v19, v24, v19
	v_rcp_f32_e32 v29, v26
	s_delay_alu instid0(VALU_DEP_2) | instskip(NEXT) | instid1(TRANS32_DEP_2)
	v_rcp_f32_e32 v30, v28
	v_fma_f32 v31, -v26, v29, 1.0
	s_delay_alu instid0(TRANS32_DEP_1) | instskip(NEXT) | instid1(VALU_DEP_1)
	v_fma_f32 v32, -v28, v30, 1.0
	v_dual_fmac_f32 v29, v31, v29 :: v_dual_fmac_f32 v30, v32, v30
	v_div_scale_f32 v31, s0, v18, v24, v18
	s_delay_alu instid0(VALU_DEP_2) | instskip(NEXT) | instid1(VALU_DEP_1)
	v_mul_f32_e32 v32, v33, v29
	v_fma_f32 v35, -v26, v32, v33
	s_delay_alu instid0(VALU_DEP_1) | instskip(NEXT) | instid1(VALU_DEP_1)
	v_fmac_f32_e32 v32, v35, v29
	v_fma_f32 v26, -v26, v32, v33
	s_wait_alu 0xfffd
	s_delay_alu instid0(VALU_DEP_1)
	v_div_fmas_f32 v26, v26, v29, v32
	s_mov_b32 vcc_lo, s0
	v_add_co_u32 v2, s0, s10, v2
	s_wait_alu 0xf1ff
	v_add_co_ci_u32_e64 v3, null, s11, v3, s0
	v_div_fixup_f32 v29, v26, v24, v19
	v_mul_f32_e32 v34, v31, v30
	s_wait_loadcnt 0x4
	s_delay_alu instid0(VALU_DEP_2) | instskip(NEXT) | instid1(VALU_DEP_2)
	v_mul_f32_e32 v26, v29, v21
	v_fma_f32 v36, -v28, v34, v31
	s_wait_loadcnt 0x1
	s_delay_alu instid0(VALU_DEP_1) | instskip(NEXT) | instid1(VALU_DEP_1)
	v_dual_mul_f32 v35, v25, v29 :: v_dual_fmac_f32 v34, v36, v30
	v_fma_f32 v28, -v28, v34, v31
	s_wait_alu 0xfffe
	s_delay_alu instid0(VALU_DEP_1) | instskip(NEXT) | instid1(VALU_DEP_1)
	v_div_fmas_f32 v28, v28, v30, v34
	v_div_fixup_f32 v28, v28, v24, v18
	v_mul_f32_e32 v24, v20, v29
	s_delay_alu instid0(VALU_DEP_2) | instskip(NEXT) | instid1(VALU_DEP_2)
	v_fma_f32 v26, -v23, v28, v26
	v_fma_f32 v24, -v22, v28, v24
	v_mul_f32_e32 v18, v18, v28
	v_mul_f32_e32 v20, v20, v28
	;; [unrolled: 1-line block ×3, first 2 shown]
	s_delay_alu instid0(VALU_DEP_4) | instskip(SKIP_1) | instid1(VALU_DEP_4)
	v_div_scale_f32 v30, null, v24, v24, v26
	v_div_scale_f32 v33, vcc_lo, v26, v24, v26
	v_fmac_f32_e32 v20, v22, v29
	s_delay_alu instid0(VALU_DEP_3) | instskip(SKIP_2) | instid1(TRANS32_DEP_1)
	v_rcp_f32_e32 v31, v30
	v_fmac_f32_e32 v18, v19, v29
	v_fmac_f32_e32 v21, v23, v29
	v_fma_f32 v32, -v30, v31, 1.0
	s_delay_alu instid0(VALU_DEP_1) | instskip(NEXT) | instid1(VALU_DEP_1)
	v_fmac_f32_e32 v31, v32, v31
	v_mul_f32_e32 v32, v33, v31
	s_delay_alu instid0(VALU_DEP_1) | instskip(NEXT) | instid1(VALU_DEP_1)
	v_fma_f32 v34, -v30, v32, v33
	v_fmac_f32_e32 v32, v34, v31
	global_load_b32 v34, v[2:3], off
	s_wait_loadcnt 0x1
	v_fma_f32 v22, -v27, v28, v35
	s_clause 0x1
	global_store_b32 v[12:13], v20, off
	global_store_b32 v[16:17], v22, off
	global_store_b32 v[14:15], v21, off
	v_fma_f32 v30, -v30, v32, v33
	global_load_b32 v16, v[12:13], off
	v_mul_f32_e32 v35, v25, v28
	s_wait_alu 0xfffd
	v_div_fmas_f32 v30, v30, v31, v32
	s_delay_alu instid0(VALU_DEP_2) | instskip(NEXT) | instid1(VALU_DEP_2)
	v_fmac_f32_e32 v35, v27, v29
	v_div_fixup_f32 v19, v30, v24, v26
	global_store_b32 v[10:11], v19, off
	global_load_b32 v17, v[14:15], off
	s_clause 0x1
	global_store_b32 v[8:9], v18, off
	global_store_b32 v[6:7], v24, off
	global_load_b32 v9, v[8:9], off
	v_mad_co_u64_u32 v[6:7], null, s17, s22, v[1:2]
	v_add_nc_u32_e32 v18, s4, v1
	s_delay_alu instid0(VALU_DEP_2) | instskip(NEXT) | instid1(VALU_DEP_1)
	v_ashrrev_i32_e32 v7, 31, v6
	v_lshlrev_b64_e32 v[7:8], 2, v[6:7]
	s_delay_alu instid0(VALU_DEP_1) | instskip(SKIP_1) | instid1(VALU_DEP_2)
	v_add_co_u32 v12, vcc_lo, s12, v7
	s_wait_alu 0xfffd
	v_add_co_ci_u32_e64 v13, null, s13, v8, vcc_lo
	global_load_b32 v30, v[12:13], off
	s_wait_loadcnt 0x4
	v_mul_f32_e32 v27, v28, v34
	s_wait_loadcnt 0x2
	v_fma_f32 v31, -v19, v16, v17
	v_add_nc_u32_e32 v16, s17, v6
	v_ashrrev_i32_e32 v19, 31, v18
	s_wait_loadcnt 0x1
	s_delay_alu instid0(VALU_DEP_3) | instskip(SKIP_2) | instid1(VALU_DEP_3)
	v_div_scale_f32 v26, null, v9, v9, v31
	v_div_scale_f32 v33, vcc_lo, v31, v9, v31
	v_ashrrev_i32_e32 v17, 31, v16
	v_rcp_f32_e32 v32, v26
	s_delay_alu instid0(VALU_DEP_1) | instskip(SKIP_1) | instid1(TRANS32_DEP_1)
	v_lshlrev_b64_e32 v[20:21], 2, v[16:17]
	v_lshlrev_b64_e32 v[17:18], 2, v[18:19]
	v_fma_f32 v6, -v26, v32, 1.0
	s_delay_alu instid0(VALU_DEP_3) | instskip(SKIP_1) | instid1(VALU_DEP_4)
	v_add_co_u32 v19, s0, s12, v20
	s_wait_alu 0xf1ff
	v_add_co_ci_u32_e64 v20, null, s13, v21, s0
	s_delay_alu instid0(VALU_DEP_3) | instskip(SKIP_3) | instid1(VALU_DEP_3)
	v_fmac_f32_e32 v32, v6, v32
	v_add_co_u32 v21, s0, s2, v17
	s_wait_alu 0xf1ff
	v_add_co_ci_u32_e64 v22, null, s3, v18, s0
	v_mul_f32_e32 v6, v33, v32
	s_delay_alu instid0(VALU_DEP_1) | instskip(NEXT) | instid1(VALU_DEP_1)
	v_fma_f32 v23, -v26, v6, v33
	v_fmac_f32_e32 v6, v23, v32
	v_add_co_u32 v23, s0, s8, v17
	s_wait_alu 0xf1ff
	v_add_co_ci_u32_e64 v24, null, s9, v18, s0
	s_delay_alu instid0(VALU_DEP_3)
	v_fma_f32 v26, -v26, v6, v33
	v_mul_f32_e32 v33, v29, v34
	s_sub_co_i32 s0, s4, s18
	global_load_b32 v23, v[23:24], off
	s_wait_alu 0xfffe
	v_add_nc_u32_e32 v1, s0, v1
	s_wait_alu 0xfffd
	v_div_fmas_f32 v6, v26, v32, v6
	v_add_co_u32 v25, vcc_lo, s10, v17
	s_wait_alu 0xfffd
	v_add_co_ci_u32_e64 v26, null, s11, v18, vcc_lo
	s_delay_alu instid0(VALU_DEP_3)
	v_div_fixup_f32 v6, v6, v9, v31
	global_load_b32 v9, v[19:20], off
	s_wait_loadcnt 0x2
	v_fma_f32 v31, -v30, v28, v33
	v_add_co_u32 v17, vcc_lo, s6, v17
	global_store_b32 v[14:15], v6, off
	global_load_b32 v24, v[21:22], off
	s_wait_alu 0xfffd
	v_add_co_ci_u32_e64 v18, null, s7, v18, vcc_lo
	s_clause 0x1
	global_store_b32 v[4:5], v35, off
	global_store_b32 v[2:3], v31, off
	global_load_b32 v2, v[25:26], off
	global_load_b32 v3, v[10:11], off
	;; [unrolled: 1-line block ×3, first 2 shown]
	v_fmac_f32_e32 v27, v30, v29
	s_cmp_lt_i32 s16, 5
	s_wait_loadcnt 0x3
	v_fma_f32 v4, -v6, v23, v24
	s_wait_loadcnt 0x1
	s_delay_alu instid0(VALU_DEP_1) | instskip(SKIP_1) | instid1(VALU_DEP_1)
	v_fma_f32 v25, -v2, v3, v4
	s_wait_loadcnt 0x0
	v_div_scale_f32 v17, null, v18, v18, v25
	v_div_scale_f32 v24, vcc_lo, v25, v18, v25
	s_delay_alu instid0(VALU_DEP_2) | instskip(SKIP_1) | instid1(VALU_DEP_1)
	v_rcp_f32_e32 v23, v17
	v_mad_co_u64_u32 v[3:4], null, s17, -3, v[16:17]
	v_ashrrev_i32_e32 v4, 31, v3
	s_delay_alu instid0(TRANS32_DEP_1) | instskip(NEXT) | instid1(VALU_DEP_2)
	v_fma_f32 v2, -v17, v23, 1.0
	v_lshlrev_b64_e32 v[3:4], 2, v[3:4]
	s_delay_alu instid0(VALU_DEP_2) | instskip(SKIP_1) | instid1(VALU_DEP_2)
	v_fmac_f32_e32 v23, v2, v23
	v_ashrrev_i32_e32 v2, 31, v1
	v_mul_f32_e32 v26, v24, v23
	s_delay_alu instid0(VALU_DEP_2) | instskip(NEXT) | instid1(VALU_DEP_2)
	v_lshlrev_b64_e32 v[1:2], 2, v[1:2]
	v_fma_f32 v5, -v17, v26, v24
	s_delay_alu instid0(VALU_DEP_1) | instskip(NEXT) | instid1(VALU_DEP_3)
	v_fmac_f32_e32 v26, v5, v23
	v_add_co_u32 v5, s0, s2, v1
	s_wait_alu 0xf1ff
	s_delay_alu instid0(VALU_DEP_4) | instskip(NEXT) | instid1(VALU_DEP_3)
	v_add_co_ci_u32_e64 v6, null, s3, v2, s0
	v_fma_f32 v24, -v17, v26, v24
	v_add_co_u32 v16, s0, s8, v1
	s_wait_alu 0xf1ff
	v_add_co_ci_u32_e64 v17, null, s9, v2, s0
	s_wait_alu 0xfffd
	v_div_fmas_f32 v26, v24, v23, v26
	v_add_co_u32 v23, vcc_lo, s10, v1
	s_wait_alu 0xfffd
	v_add_co_ci_u32_e64 v24, null, s11, v2, vcc_lo
	s_delay_alu instid0(VALU_DEP_3)
	v_div_fixup_f32 v18, v26, v18, v25
	global_load_b32 v16, v[16:17], off
	v_add_co_u32 v3, vcc_lo, s12, v3
	s_wait_alu 0xfffd
	v_add_co_ci_u32_e64 v4, null, s13, v4, vcc_lo
	global_store_b32 v[21:22], v18, off
	global_load_b32 v17, v[5:6], off
	global_load_b32 v21, v[23:24], off
	;; [unrolled: 1-line block ×3, first 2 shown]
	v_mul_f32_e32 v25, v29, v9
	v_add_co_u32 v1, vcc_lo, s6, v1
	s_wait_alu 0xfffd
	v_add_co_ci_u32_e64 v2, null, s7, v2, vcc_lo
	s_clause 0x1
	global_store_b32 v[12:13], v27, off
	global_store_b32 v[19:20], v25, off
	global_load_b32 v3, v[3:4], off
	global_load_b32 v4, v[10:11], off
	;; [unrolled: 1-line block ×3, first 2 shown]
	s_wait_loadcnt 0x5
	v_fma_f32 v1, -v18, v16, v17
	s_wait_loadcnt 0x3
	s_delay_alu instid0(VALU_DEP_1) | instskip(SKIP_1) | instid1(VALU_DEP_1)
	v_fma_f32 v1, -v21, v14, v1
	s_wait_loadcnt 0x1
	v_fma_f32 v3, -v3, v4, v1
	s_wait_loadcnt 0x0
	s_delay_alu instid0(VALU_DEP_1) | instskip(NEXT) | instid1(VALU_DEP_1)
	v_div_scale_f32 v1, null, v10, v10, v3
	v_rcp_f32_e32 v2, v1
	s_delay_alu instid0(TRANS32_DEP_1) | instskip(NEXT) | instid1(VALU_DEP_1)
	v_fma_f32 v4, -v1, v2, 1.0
	v_fmac_f32_e32 v2, v4, v2
	v_div_scale_f32 v4, vcc_lo, v3, v10, v3
	s_delay_alu instid0(VALU_DEP_1) | instskip(NEXT) | instid1(VALU_DEP_1)
	v_mul_f32_e32 v11, v4, v2
	v_fma_f32 v12, -v1, v11, v4
	s_delay_alu instid0(VALU_DEP_1) | instskip(NEXT) | instid1(VALU_DEP_1)
	v_fmac_f32_e32 v11, v12, v2
	v_fma_f32 v1, -v1, v11, v4
	v_mul_f32_e32 v4, v28, v9
	s_wait_alu 0xfffd
	s_delay_alu instid0(VALU_DEP_2) | instskip(SKIP_3) | instid1(VALU_DEP_3)
	v_div_fmas_f32 v9, v1, v2, v11
	v_add_co_u32 v1, vcc_lo, s14, v7
	s_wait_alu 0xfffd
	v_add_co_ci_u32_e64 v2, null, s15, v8, vcc_lo
	v_div_fixup_f32 v3, v9, v10, v3
	global_store_b32 v[1:2], v4, off
	global_store_b32 v[5:6], v3, off
	s_cbranch_scc1 .LBB2_7
; %bb.5:
	s_add_co_i32 s4, s16, -5
	s_add_co_i32 s0, s16, -4
	s_wait_alu 0xfffe
	v_mad_co_u64_u32 v[1:2], null, s17, s4, v[0:1]
	s_add_co_i32 s5, s16, -3
	v_mad_co_u64_u32 v[2:3], null, s18, s0, v[0:1]
	s_wait_alu 0xfffe
	v_mad_co_u64_u32 v[3:4], null, s18, s5, v[0:1]
	v_mad_co_u64_u32 v[4:5], null, s18, s22, v[0:1]
	;; [unrolled: 1-line block ×3, first 2 shown]
	v_add_nc_u32_e32 v0, s1, v0
.LBB2_6:                                ; =>This Inner Loop Header: Depth=1
	s_delay_alu instid0(VALU_DEP_2)
	v_add_nc_u32_e32 v6, s19, v5
	v_add_nc_u32_e32 v8, s19, v2
	;; [unrolled: 1-line block ×5, first 2 shown]
	v_ashrrev_i32_e32 v7, 31, v6
	v_ashrrev_i32_e32 v9, 31, v8
	;; [unrolled: 1-line block ×4, first 2 shown]
	v_add_nc_u32_e32 v16, s19, v0
	v_lshlrev_b64_e32 v[6:7], 2, v[6:7]
	v_lshlrev_b64_e32 v[8:9], 2, v[8:9]
	v_ashrrev_i32_e32 v15, 31, v14
	v_lshlrev_b64_e32 v[10:11], 2, v[10:11]
	v_lshlrev_b64_e32 v[12:13], 2, v[12:13]
	v_ashrrev_i32_e32 v17, 31, v16
	v_add_co_u32 v18, vcc_lo, s2, v6
	s_wait_alu 0xfffd
	v_add_co_ci_u32_e64 v19, null, s3, v7, vcc_lo
	v_add_co_u32 v20, vcc_lo, s8, v6
	s_wait_alu 0xfffd
	v_add_co_ci_u32_e64 v21, null, s9, v7, vcc_lo
	v_add_co_u32 v8, vcc_lo, s2, v8
	v_lshlrev_b64_e32 v[14:15], 2, v[14:15]
	s_wait_alu 0xfffd
	v_add_co_ci_u32_e64 v9, null, s3, v9, vcc_lo
	v_add_co_u32 v22, vcc_lo, s10, v6
	s_wait_alu 0xfffd
	v_add_co_ci_u32_e64 v23, null, s11, v7, vcc_lo
	v_add_co_u32 v10, vcc_lo, s2, v10
	v_lshlrev_b64_e32 v[16:17], 2, v[16:17]
	s_wait_alu 0xfffd
	v_add_co_ci_u32_e64 v11, null, s3, v11, vcc_lo
	v_add_co_u32 v24, vcc_lo, s12, v12
	global_load_b32 v26, v[18:19], off
	global_load_b32 v20, v[20:21], off
	;; [unrolled: 1-line block ×3, first 2 shown]
	s_wait_alu 0xfffd
	v_add_co_ci_u32_e64 v25, null, s13, v13, vcc_lo
	v_add_co_u32 v14, vcc_lo, s2, v14
	s_wait_alu 0xfffd
	v_add_co_ci_u32_e64 v15, null, s3, v15, vcc_lo
	v_add_co_u32 v12, vcc_lo, s14, v12
	;; [unrolled: 3-line block ×3, first 2 shown]
	global_load_b32 v16, v[22:23], off
	global_load_b32 v10, v[10:11], off
	;; [unrolled: 1-line block ×4, first 2 shown]
	s_wait_alu 0xfffd
	v_add_co_ci_u32_e64 v9, null, s3, v17, vcc_lo
	v_add_co_u32 v6, vcc_lo, s6, v6
	s_wait_alu 0xfffd
	v_add_co_ci_u32_e64 v7, null, s7, v7, vcc_lo
	global_load_b32 v12, v[12:13], off
	global_load_b32 v8, v[8:9], off
	;; [unrolled: 1-line block ×3, first 2 shown]
	v_subrev_nc_u32_e32 v1, s17, v1
	v_subrev_nc_u32_e32 v2, s18, v2
	;; [unrolled: 1-line block ×6, first 2 shown]
	s_add_co_i32 s0, s0, -1
	s_wait_alu 0xfffe
	s_cmp_lg_u32 s0, 0
	s_wait_loadcnt 0x7
	v_fma_f32 v7, -v20, v21, v26
	s_wait_loadcnt 0x5
	s_delay_alu instid0(VALU_DEP_1) | instskip(SKIP_1) | instid1(VALU_DEP_1)
	v_fma_f32 v7, -v16, v10, v7
	s_wait_loadcnt 0x3
	v_fma_f32 v7, -v11, v14, v7
	s_wait_loadcnt 0x1
	s_delay_alu instid0(VALU_DEP_1) | instskip(SKIP_1) | instid1(VALU_DEP_1)
	v_fma_f32 v7, -v12, v8, v7
	s_wait_loadcnt 0x0
	v_div_scale_f32 v8, null, v6, v6, v7
	v_div_scale_f32 v11, vcc_lo, v7, v6, v7
	s_delay_alu instid0(VALU_DEP_2) | instskip(NEXT) | instid1(TRANS32_DEP_1)
	v_rcp_f32_e32 v9, v8
	v_fma_f32 v10, -v8, v9, 1.0
	s_delay_alu instid0(VALU_DEP_1) | instskip(NEXT) | instid1(VALU_DEP_1)
	v_fmac_f32_e32 v9, v10, v9
	v_mul_f32_e32 v10, v11, v9
	s_delay_alu instid0(VALU_DEP_1) | instskip(NEXT) | instid1(VALU_DEP_1)
	v_fma_f32 v12, -v8, v10, v11
	v_fmac_f32_e32 v10, v12, v9
	s_delay_alu instid0(VALU_DEP_1) | instskip(SKIP_1) | instid1(VALU_DEP_1)
	v_fma_f32 v8, -v8, v10, v11
	s_wait_alu 0xfffd
	v_div_fmas_f32 v8, v8, v9, v10
	s_delay_alu instid0(VALU_DEP_1)
	v_div_fixup_f32 v6, v8, v6, v7
	global_store_b32 v[18:19], v6, off
	s_cbranch_scc1 .LBB2_6
.LBB2_7:
	s_endpgm
	.section	.rodata,"a",@progbits
	.p2align	6, 0x0
	.amdhsa_kernel _ZN9rocsparseL39gpsv_interleaved_batch_givens_qr_kernelILj128EfEEviiiPT0_S2_S2_S2_S2_S2_S2_S2_
		.amdhsa_group_segment_fixed_size 0
		.amdhsa_private_segment_fixed_size 0
		.amdhsa_kernarg_size 80
		.amdhsa_user_sgpr_count 2
		.amdhsa_user_sgpr_dispatch_ptr 0
		.amdhsa_user_sgpr_queue_ptr 0
		.amdhsa_user_sgpr_kernarg_segment_ptr 1
		.amdhsa_user_sgpr_dispatch_id 0
		.amdhsa_user_sgpr_private_segment_size 0
		.amdhsa_wavefront_size32 1
		.amdhsa_uses_dynamic_stack 0
		.amdhsa_enable_private_segment 0
		.amdhsa_system_sgpr_workgroup_id_x 1
		.amdhsa_system_sgpr_workgroup_id_y 0
		.amdhsa_system_sgpr_workgroup_id_z 0
		.amdhsa_system_sgpr_workgroup_info 0
		.amdhsa_system_vgpr_workitem_id 0
		.amdhsa_next_free_vgpr 54
		.amdhsa_next_free_sgpr 24
		.amdhsa_reserve_vcc 1
		.amdhsa_float_round_mode_32 0
		.amdhsa_float_round_mode_16_64 0
		.amdhsa_float_denorm_mode_32 3
		.amdhsa_float_denorm_mode_16_64 3
		.amdhsa_fp16_overflow 0
		.amdhsa_workgroup_processor_mode 1
		.amdhsa_memory_ordered 1
		.amdhsa_forward_progress 1
		.amdhsa_inst_pref_size 38
		.amdhsa_round_robin_scheduling 0
		.amdhsa_exception_fp_ieee_invalid_op 0
		.amdhsa_exception_fp_denorm_src 0
		.amdhsa_exception_fp_ieee_div_zero 0
		.amdhsa_exception_fp_ieee_overflow 0
		.amdhsa_exception_fp_ieee_underflow 0
		.amdhsa_exception_fp_ieee_inexact 0
		.amdhsa_exception_int_div_zero 0
	.end_amdhsa_kernel
	.section	.text._ZN9rocsparseL39gpsv_interleaved_batch_givens_qr_kernelILj128EfEEviiiPT0_S2_S2_S2_S2_S2_S2_S2_,"axG",@progbits,_ZN9rocsparseL39gpsv_interleaved_batch_givens_qr_kernelILj128EfEEviiiPT0_S2_S2_S2_S2_S2_S2_S2_,comdat
.Lfunc_end2:
	.size	_ZN9rocsparseL39gpsv_interleaved_batch_givens_qr_kernelILj128EfEEviiiPT0_S2_S2_S2_S2_S2_S2_S2_, .Lfunc_end2-_ZN9rocsparseL39gpsv_interleaved_batch_givens_qr_kernelILj128EfEEviiiPT0_S2_S2_S2_S2_S2_S2_S2_
                                        ; -- End function
	.set _ZN9rocsparseL39gpsv_interleaved_batch_givens_qr_kernelILj128EfEEviiiPT0_S2_S2_S2_S2_S2_S2_S2_.num_vgpr, 54
	.set _ZN9rocsparseL39gpsv_interleaved_batch_givens_qr_kernelILj128EfEEviiiPT0_S2_S2_S2_S2_S2_S2_S2_.num_agpr, 0
	.set _ZN9rocsparseL39gpsv_interleaved_batch_givens_qr_kernelILj128EfEEviiiPT0_S2_S2_S2_S2_S2_S2_S2_.numbered_sgpr, 24
	.set _ZN9rocsparseL39gpsv_interleaved_batch_givens_qr_kernelILj128EfEEviiiPT0_S2_S2_S2_S2_S2_S2_S2_.num_named_barrier, 0
	.set _ZN9rocsparseL39gpsv_interleaved_batch_givens_qr_kernelILj128EfEEviiiPT0_S2_S2_S2_S2_S2_S2_S2_.private_seg_size, 0
	.set _ZN9rocsparseL39gpsv_interleaved_batch_givens_qr_kernelILj128EfEEviiiPT0_S2_S2_S2_S2_S2_S2_S2_.uses_vcc, 1
	.set _ZN9rocsparseL39gpsv_interleaved_batch_givens_qr_kernelILj128EfEEviiiPT0_S2_S2_S2_S2_S2_S2_S2_.uses_flat_scratch, 0
	.set _ZN9rocsparseL39gpsv_interleaved_batch_givens_qr_kernelILj128EfEEviiiPT0_S2_S2_S2_S2_S2_S2_S2_.has_dyn_sized_stack, 0
	.set _ZN9rocsparseL39gpsv_interleaved_batch_givens_qr_kernelILj128EfEEviiiPT0_S2_S2_S2_S2_S2_S2_S2_.has_recursion, 0
	.set _ZN9rocsparseL39gpsv_interleaved_batch_givens_qr_kernelILj128EfEEviiiPT0_S2_S2_S2_S2_S2_S2_S2_.has_indirect_call, 0
	.section	.AMDGPU.csdata,"",@progbits
; Kernel info:
; codeLenInByte = 4756
; TotalNumSgprs: 26
; NumVgprs: 54
; ScratchSize: 0
; MemoryBound: 0
; FloatMode: 240
; IeeeMode: 1
; LDSByteSize: 0 bytes/workgroup (compile time only)
; SGPRBlocks: 0
; VGPRBlocks: 6
; NumSGPRsForWavesPerEU: 26
; NumVGPRsForWavesPerEU: 54
; Occupancy: 16
; WaveLimiterHint : 0
; COMPUTE_PGM_RSRC2:SCRATCH_EN: 0
; COMPUTE_PGM_RSRC2:USER_SGPR: 2
; COMPUTE_PGM_RSRC2:TRAP_HANDLER: 0
; COMPUTE_PGM_RSRC2:TGID_X_EN: 1
; COMPUTE_PGM_RSRC2:TGID_Y_EN: 0
; COMPUTE_PGM_RSRC2:TGID_Z_EN: 0
; COMPUTE_PGM_RSRC2:TIDIG_COMP_CNT: 0
	.section	.text._ZN9rocsparseL19gpsv_strided_gatherILj256EdEEviiiPKT0_PS1_,"axG",@progbits,_ZN9rocsparseL19gpsv_strided_gatherILj256EdEEviiiPKT0_PS1_,comdat
	.globl	_ZN9rocsparseL19gpsv_strided_gatherILj256EdEEviiiPKT0_PS1_ ; -- Begin function _ZN9rocsparseL19gpsv_strided_gatherILj256EdEEviiiPKT0_PS1_
	.p2align	8
	.type	_ZN9rocsparseL19gpsv_strided_gatherILj256EdEEviiiPKT0_PS1_,@function
_ZN9rocsparseL19gpsv_strided_gatherILj256EdEEviiiPKT0_PS1_: ; @_ZN9rocsparseL19gpsv_strided_gatherILj256EdEEviiiPKT0_PS1_
; %bb.0:
	s_clause 0x1
	s_load_b32 s2, s[0:1], 0x2c
	s_load_b96 s[4:6], s[0:1], 0x0
	s_wait_kmcnt 0x0
	s_and_b32 s2, s2, 0xffff
	s_cmp_gt_i32 s4, 0
	v_mad_co_u64_u32 v[0:1], null, ttmp9, s2, v[0:1]
	s_cselect_b32 s2, -1, 0
	v_cmp_gt_i32_e32 vcc_lo, s5, v0
	s_wait_alu 0xfffe
	s_and_b32 s2, vcc_lo, s2
	s_wait_alu 0xfffe
	s_and_saveexec_b32 s3, s2
	s_cbranch_execz .LBB3_3
; %bb.1:
	s_load_b128 s[0:3], s[0:1], 0x10
	v_mov_b32_e32 v2, v0
.LBB3_2:                                ; =>This Inner Loop Header: Depth=1
	v_ashrrev_i32_e32 v1, 31, v0
	s_add_co_i32 s4, s4, -1
	s_wait_alu 0xfffe
	s_cmp_lg_u32 s4, 0
	s_delay_alu instid0(VALU_DEP_1) | instskip(SKIP_2) | instid1(VALU_DEP_2)
	v_lshlrev_b64_e32 v[3:4], 3, v[0:1]
	v_add_nc_u32_e32 v0, s6, v0
	s_wait_kmcnt 0x0
	v_add_co_u32 v3, vcc_lo, s0, v3
	s_wait_alu 0xfffd
	s_delay_alu instid0(VALU_DEP_3) | instskip(SKIP_2) | instid1(VALU_DEP_1)
	v_add_co_ci_u32_e64 v4, null, s1, v4, vcc_lo
	global_load_b64 v[4:5], v[3:4], off
	v_ashrrev_i32_e32 v3, 31, v2
	v_lshlrev_b64_e32 v[6:7], 3, v[2:3]
	v_add_nc_u32_e32 v2, s5, v2
	s_delay_alu instid0(VALU_DEP_2) | instskip(SKIP_1) | instid1(VALU_DEP_3)
	v_add_co_u32 v6, vcc_lo, s2, v6
	s_wait_alu 0xfffd
	v_add_co_ci_u32_e64 v7, null, s3, v7, vcc_lo
	s_wait_loadcnt 0x0
	global_store_b64 v[6:7], v[4:5], off
	s_cbranch_scc1 .LBB3_2
.LBB3_3:
	s_endpgm
	.section	.rodata,"a",@progbits
	.p2align	6, 0x0
	.amdhsa_kernel _ZN9rocsparseL19gpsv_strided_gatherILj256EdEEviiiPKT0_PS1_
		.amdhsa_group_segment_fixed_size 0
		.amdhsa_private_segment_fixed_size 0
		.amdhsa_kernarg_size 288
		.amdhsa_user_sgpr_count 2
		.amdhsa_user_sgpr_dispatch_ptr 0
		.amdhsa_user_sgpr_queue_ptr 0
		.amdhsa_user_sgpr_kernarg_segment_ptr 1
		.amdhsa_user_sgpr_dispatch_id 0
		.amdhsa_user_sgpr_private_segment_size 0
		.amdhsa_wavefront_size32 1
		.amdhsa_uses_dynamic_stack 0
		.amdhsa_enable_private_segment 0
		.amdhsa_system_sgpr_workgroup_id_x 1
		.amdhsa_system_sgpr_workgroup_id_y 0
		.amdhsa_system_sgpr_workgroup_id_z 0
		.amdhsa_system_sgpr_workgroup_info 0
		.amdhsa_system_vgpr_workitem_id 0
		.amdhsa_next_free_vgpr 8
		.amdhsa_next_free_sgpr 7
		.amdhsa_reserve_vcc 1
		.amdhsa_float_round_mode_32 0
		.amdhsa_float_round_mode_16_64 0
		.amdhsa_float_denorm_mode_32 3
		.amdhsa_float_denorm_mode_16_64 3
		.amdhsa_fp16_overflow 0
		.amdhsa_workgroup_processor_mode 1
		.amdhsa_memory_ordered 1
		.amdhsa_forward_progress 1
		.amdhsa_inst_pref_size 2
		.amdhsa_round_robin_scheduling 0
		.amdhsa_exception_fp_ieee_invalid_op 0
		.amdhsa_exception_fp_denorm_src 0
		.amdhsa_exception_fp_ieee_div_zero 0
		.amdhsa_exception_fp_ieee_overflow 0
		.amdhsa_exception_fp_ieee_underflow 0
		.amdhsa_exception_fp_ieee_inexact 0
		.amdhsa_exception_int_div_zero 0
	.end_amdhsa_kernel
	.section	.text._ZN9rocsparseL19gpsv_strided_gatherILj256EdEEviiiPKT0_PS1_,"axG",@progbits,_ZN9rocsparseL19gpsv_strided_gatherILj256EdEEviiiPKT0_PS1_,comdat
.Lfunc_end3:
	.size	_ZN9rocsparseL19gpsv_strided_gatherILj256EdEEviiiPKT0_PS1_, .Lfunc_end3-_ZN9rocsparseL19gpsv_strided_gatherILj256EdEEviiiPKT0_PS1_
                                        ; -- End function
	.set _ZN9rocsparseL19gpsv_strided_gatherILj256EdEEviiiPKT0_PS1_.num_vgpr, 8
	.set _ZN9rocsparseL19gpsv_strided_gatherILj256EdEEviiiPKT0_PS1_.num_agpr, 0
	.set _ZN9rocsparseL19gpsv_strided_gatherILj256EdEEviiiPKT0_PS1_.numbered_sgpr, 7
	.set _ZN9rocsparseL19gpsv_strided_gatherILj256EdEEviiiPKT0_PS1_.num_named_barrier, 0
	.set _ZN9rocsparseL19gpsv_strided_gatherILj256EdEEviiiPKT0_PS1_.private_seg_size, 0
	.set _ZN9rocsparseL19gpsv_strided_gatherILj256EdEEviiiPKT0_PS1_.uses_vcc, 1
	.set _ZN9rocsparseL19gpsv_strided_gatherILj256EdEEviiiPKT0_PS1_.uses_flat_scratch, 0
	.set _ZN9rocsparseL19gpsv_strided_gatherILj256EdEEviiiPKT0_PS1_.has_dyn_sized_stack, 0
	.set _ZN9rocsparseL19gpsv_strided_gatherILj256EdEEviiiPKT0_PS1_.has_recursion, 0
	.set _ZN9rocsparseL19gpsv_strided_gatherILj256EdEEviiiPKT0_PS1_.has_indirect_call, 0
	.section	.AMDGPU.csdata,"",@progbits
; Kernel info:
; codeLenInByte = 212
; TotalNumSgprs: 9
; NumVgprs: 8
; ScratchSize: 0
; MemoryBound: 0
; FloatMode: 240
; IeeeMode: 1
; LDSByteSize: 0 bytes/workgroup (compile time only)
; SGPRBlocks: 0
; VGPRBlocks: 0
; NumSGPRsForWavesPerEU: 9
; NumVGPRsForWavesPerEU: 8
; Occupancy: 16
; WaveLimiterHint : 0
; COMPUTE_PGM_RSRC2:SCRATCH_EN: 0
; COMPUTE_PGM_RSRC2:USER_SGPR: 2
; COMPUTE_PGM_RSRC2:TRAP_HANDLER: 0
; COMPUTE_PGM_RSRC2:TGID_X_EN: 1
; COMPUTE_PGM_RSRC2:TGID_Y_EN: 0
; COMPUTE_PGM_RSRC2:TGID_Z_EN: 0
; COMPUTE_PGM_RSRC2:TIDIG_COMP_CNT: 0
	.section	.text._ZN9rocsparseL44gpsv_interleaved_batch_householder_qr_kernelILj256EdEEviiiPT0_S2_S2_S2_S2_S2_S2_S2_S2_,"axG",@progbits,_ZN9rocsparseL44gpsv_interleaved_batch_householder_qr_kernelILj256EdEEviiiPT0_S2_S2_S2_S2_S2_S2_S2_S2_,comdat
	.globl	_ZN9rocsparseL44gpsv_interleaved_batch_householder_qr_kernelILj256EdEEviiiPT0_S2_S2_S2_S2_S2_S2_S2_S2_ ; -- Begin function _ZN9rocsparseL44gpsv_interleaved_batch_householder_qr_kernelILj256EdEEviiiPT0_S2_S2_S2_S2_S2_S2_S2_S2_
	.p2align	8
	.type	_ZN9rocsparseL44gpsv_interleaved_batch_householder_qr_kernelILj256EdEEviiiPT0_S2_S2_S2_S2_S2_S2_S2_S2_,@function
_ZN9rocsparseL44gpsv_interleaved_batch_householder_qr_kernelILj256EdEEviiiPT0_S2_S2_S2_S2_S2_S2_S2_S2_: ; @_ZN9rocsparseL44gpsv_interleaved_batch_householder_qr_kernelILj256EdEEviiiPT0_S2_S2_S2_S2_S2_S2_S2_S2_
; %bb.0:
	s_clause 0x1
	s_load_b32 s2, s[0:1], 0x64
	s_load_b96 s[16:18], s[0:1], 0x0
	s_wait_kmcnt 0x0
	s_and_b32 s2, s2, 0xffff
	s_delay_alu instid0(SALU_CYCLE_1) | instskip(SKIP_2) | instid1(VALU_DEP_1)
	s_mul_i32 s5, ttmp9, s2
	s_mov_b32 s2, exec_lo
	v_add_nc_u32_e32 v1, s5, v0
	v_cmpx_gt_i32_e64 s17, v1
	s_cbranch_execz .LBB4_32
; %bb.1:
	s_clause 0x3
	s_load_b64 s[6:7], s[0:1], 0x50
	s_load_b128 s[8:11], s[0:1], 0x40
	s_load_b128 s[12:15], s[0:1], 0x20
	s_load_b64 s[20:21], s[0:1], 0x30
	s_cmp_lt_i32 s16, 2
	s_cbranch_scc1 .LBB4_19
; %bb.2:
	s_load_b64 s[22:23], s[0:1], 0x18
	s_add_co_i32 s19, s16, -2
	s_mov_b32 s2, 0
	s_cmp_eq_u32 s19, 0
	s_cbranch_scc1 .LBB4_12
; %bb.3:
	s_load_b64 s[24:25], s[0:1], 0x10
	v_dual_mov_b32 v65, v0 :: v_dual_add_nc_u32 v60, s17, v0
	v_lshl_add_u32 v61, s17, 1, v0
	v_lshl_add_u32 v62, s18, 1, v0
	v_dual_mov_b32 v64, v0 :: v_dual_add_nc_u32 v63, s18, v0
	s_mov_b32 s26, 0
	s_branch .LBB4_6
.LBB4_4:                                ;   in Loop: Header=BB4_6 Depth=1
	s_wait_alu 0xfffe
	s_or_b32 exec_lo, exec_lo, s2
	s_delay_alu instid0(VALU_DEP_1)
	v_div_scale_f64 v[58:59], null, v[56:57], v[56:57], v[10:11]
	v_div_scale_f64 v[66:67], null, v[56:57], v[56:57], v[6:7]
	v_div_scale_f64 v[76:77], vcc_lo, v[10:11], v[56:57], v[10:11]
	v_div_scale_f64 v[78:79], s2, v[6:7], v[56:57], v[6:7]
	v_fma_f64 v[54:55], v[56:57], v[56:57], v[54:55]
	v_add_nc_u32_e32 v80, s5, v65
	v_add_co_u32 v52, s4, s8, v52
	s_wait_alu 0xf1ff
	v_add_co_ci_u32_e64 v53, null, s9, v53, s4
	s_delay_alu instid0(VALU_DEP_3) | instskip(NEXT) | instid1(VALU_DEP_1)
	v_ashrrev_i32_e32 v81, 31, v80
	v_lshlrev_b64_e32 v[80:81], 3, v[80:81]
	v_rcp_f64_e32 v[68:69], v[58:59]
	v_rcp_f64_e32 v[70:71], v[66:67]
	s_delay_alu instid0(TRANS32_DEP_2) | instskip(NEXT) | instid1(TRANS32_DEP_1)
	v_fma_f64 v[72:73], -v[58:59], v[68:69], 1.0
	v_fma_f64 v[74:75], -v[66:67], v[70:71], 1.0
	s_delay_alu instid0(VALU_DEP_2) | instskip(NEXT) | instid1(VALU_DEP_2)
	v_fma_f64 v[68:69], v[68:69], v[72:73], v[68:69]
	v_fma_f64 v[70:71], v[70:71], v[74:75], v[70:71]
	s_delay_alu instid0(VALU_DEP_2) | instskip(NEXT) | instid1(VALU_DEP_2)
	v_fma_f64 v[72:73], -v[58:59], v[68:69], 1.0
	v_fma_f64 v[74:75], -v[66:67], v[70:71], 1.0
	s_delay_alu instid0(VALU_DEP_2) | instskip(SKIP_1) | instid1(VALU_DEP_3)
	v_fma_f64 v[68:69], v[68:69], v[72:73], v[68:69]
	v_mul_f64_e32 v[72:73], v[56:57], v[56:57]
	v_fma_f64 v[70:71], v[70:71], v[74:75], v[70:71]
	s_delay_alu instid0(VALU_DEP_3) | instskip(NEXT) | instid1(VALU_DEP_3)
	v_mul_f64_e32 v[74:75], v[76:77], v[68:69]
	v_add_f64_e32 v[72:73], v[72:73], v[72:73]
	s_delay_alu instid0(VALU_DEP_3) | instskip(NEXT) | instid1(VALU_DEP_3)
	v_mul_f64_e32 v[82:83], v[78:79], v[70:71]
	v_fma_f64 v[58:59], -v[58:59], v[74:75], v[76:77]
	v_add_co_u32 v76, s3, s8, v80
	s_wait_alu 0xf1ff
	v_add_co_ci_u32_e64 v77, null, s9, v81, s3
	v_div_scale_f64 v[86:87], null, v[54:55], v[54:55], v[72:73]
	v_fma_f64 v[66:67], -v[66:67], v[82:83], v[78:79]
	global_load_b64 v[84:85], v[76:77], off
	s_wait_alu 0xfffd
	v_div_fmas_f64 v[58:59], v[58:59], v[68:69], v[74:75]
	s_mov_b32 vcc_lo, s2
	v_rcp_f64_e32 v[68:69], v[86:87]
	s_wait_alu 0xfffe
	v_div_fmas_f64 v[66:67], v[66:67], v[70:71], v[82:83]
	v_div_scale_f64 v[78:79], vcc_lo, v[72:73], v[54:55], v[72:73]
	s_delay_alu instid0(VALU_DEP_3) | instskip(NEXT) | instid1(TRANS32_DEP_1)
	v_div_fixup_f64 v[58:59], v[58:59], v[56:57], v[10:11]
	v_fma_f64 v[70:71], -v[86:87], v[68:69], 1.0
	s_delay_alu instid0(VALU_DEP_4) | instskip(NEXT) | instid1(VALU_DEP_3)
	v_div_fixup_f64 v[56:57], v[66:67], v[56:57], v[6:7]
	v_fma_f64 v[66:67], v[58:59], v[58:59], 1.0
	v_fma_f64 v[10:11], v[58:59], v[10:11], v[42:43]
	s_delay_alu instid0(VALU_DEP_4) | instskip(NEXT) | instid1(VALU_DEP_3)
	v_fma_f64 v[68:69], v[68:69], v[70:71], v[68:69]
	v_fma_f64 v[66:67], v[56:57], v[56:57], v[66:67]
	s_delay_alu instid0(VALU_DEP_3) | instskip(NEXT) | instid1(VALU_DEP_3)
	v_fma_f64 v[6:7], v[56:57], v[6:7], v[10:11]
	v_fma_f64 v[70:71], -v[86:87], v[68:69], 1.0
	s_delay_alu instid0(VALU_DEP_3) | instskip(NEXT) | instid1(VALU_DEP_2)
	v_div_scale_f64 v[74:75], null, v[66:67], v[66:67], 2.0
	v_fma_f64 v[68:69], v[68:69], v[70:71], v[68:69]
	s_delay_alu instid0(VALU_DEP_2) | instskip(NEXT) | instid1(VALU_DEP_1)
	v_rcp_f64_e32 v[70:71], v[74:75]
	v_mul_f64_e32 v[82:83], v[78:79], v[68:69]
	s_delay_alu instid0(TRANS32_DEP_1) | instskip(NEXT) | instid1(VALU_DEP_2)
	v_fma_f64 v[88:89], -v[74:75], v[70:71], 1.0
	v_fma_f64 v[78:79], -v[86:87], v[82:83], v[78:79]
	s_delay_alu instid0(VALU_DEP_2) | instskip(SKIP_1) | instid1(VALU_DEP_2)
	v_fma_f64 v[70:71], v[70:71], v[88:89], v[70:71]
	s_wait_alu 0xfffd
	v_div_fmas_f64 v[68:69], v[78:79], v[68:69], v[82:83]
	s_wait_loadcnt 0x0
	v_fma_f64 v[78:79], v[58:59], v[48:49], v[84:85]
	s_delay_alu instid0(VALU_DEP_3) | instskip(NEXT) | instid1(VALU_DEP_3)
	v_fma_f64 v[82:83], -v[74:75], v[70:71], 1.0
	v_div_fixup_f64 v[54:55], v[68:69], v[54:55], v[72:73]
	v_div_scale_f64 v[72:73], vcc_lo, 2.0, v[66:67], 2.0
	s_delay_alu instid0(VALU_DEP_4) | instskip(NEXT) | instid1(VALU_DEP_4)
	v_fma_f64 v[68:69], v[56:57], v[40:41], v[78:79]
	v_fma_f64 v[70:71], v[70:71], v[82:83], v[70:71]
	s_delay_alu instid0(VALU_DEP_4) | instskip(NEXT) | instid1(VALU_DEP_3)
	v_fma_f64 v[6:7], -v[6:7], v[54:55], v[42:43]
	v_fma_f64 v[78:79], -v[54:55], v[68:69], v[84:85]
	v_add_co_u32 v84, s2, s14, v50
	v_add_co_u32 v50, s3, s20, v50
	s_wait_alu 0xf1ff
	v_add_co_ci_u32_e64 v85, null, s15, v51, s2
	v_add_co_ci_u32_e64 v51, null, s21, v51, s3
	global_load_b64 v[86:87], v[84:85], off
	global_load_b64 v[88:89], v[50:51], off
	;; [unrolled: 1-line block ×3, first 2 shown]
	v_mul_f64_e32 v[68:69], v[54:55], v[68:69]
	v_mul_f64_e32 v[82:83], v[72:73], v[70:71]
	global_store_b64 v[76:77], v[78:79], off
	v_add_co_u32 v76, s2, s10, v80
	s_wait_alu 0xf1ff
	v_add_co_ci_u32_e64 v77, null, s11, v81, s2
	v_add_co_u32 v78, s2, s6, v80
	s_wait_alu 0xf1ff
	v_add_co_ci_u32_e64 v79, null, s7, v81, s2
	global_load_b64 v[80:81], v[76:77], off
	v_fma_f64 v[48:49], -v[68:69], v[58:59], v[48:49]
	v_fma_f64 v[40:41], -v[68:69], v[56:57], v[40:41]
	;; [unrolled: 1-line block ×3, first 2 shown]
	global_load_b64 v[74:75], v[78:79], off
	s_wait_alu 0xfffd
	v_div_fmas_f64 v[70:71], v[72:73], v[70:71], v[82:83]
	global_load_b64 v[72:73], v[52:53], off
	v_div_fixup_f64 v[66:67], v[70:71], v[66:67], 2.0
	s_wait_loadcnt 0x5
	v_fma_f64 v[82:83], v[58:59], v[38:39], v[86:87]
	s_wait_loadcnt 0x4
	v_fma_f64 v[10:11], v[58:59], v[46:47], v[88:89]
	s_delay_alu instid0(VALU_DEP_2) | instskip(SKIP_2) | instid1(VALU_DEP_3)
	v_fma_f64 v[82:83], v[56:57], v[34:35], v[82:83]
	s_wait_loadcnt 0x2
	v_fma_f64 v[90:91], v[58:59], v[90:91], v[80:81]
	v_fma_f64 v[10:11], v[56:57], v[44:45], v[10:11]
	s_wait_loadcnt 0x1
	v_fma_f64 v[70:71], v[58:59], v[32:33], v[74:75]
	s_delay_alu instid0(VALU_DEP_4) | instskip(NEXT) | instid1(VALU_DEP_4)
	v_mul_f64_e32 v[42:43], v[82:83], v[54:55]
	v_fma_f64 v[90:91], v[56:57], v[36:37], v[90:91]
	v_fma_f64 v[82:83], -v[82:83], v[54:55], v[86:87]
	v_mul_f64_e32 v[86:87], v[54:55], v[10:11]
	v_fma_f64 v[10:11], -v[54:55], v[10:11], v[88:89]
	v_fma_f64 v[70:71], v[56:57], v[30:31], v[70:71]
	v_fma_f64 v[38:39], -v[42:43], v[58:59], v[38:39]
	v_mul_f64_e32 v[88:89], v[54:55], v[90:91]
	v_fma_f64 v[54:55], -v[54:55], v[90:91], v[80:81]
	v_fma_f64 v[46:47], -v[86:87], v[58:59], v[46:47]
	;; [unrolled: 1-line block ×4, first 2 shown]
	v_mul_f64_e32 v[80:81], v[66:67], v[70:71]
	v_fma_f64 v[66:67], -v[66:67], v[70:71], v[74:75]
	v_fma_f64 v[36:37], -v[88:89], v[56:57], v[36:37]
	s_wait_loadcnt 0x0
	v_fma_f64 v[44:45], -v[88:89], v[58:59], v[72:73]
	s_delay_alu instid0(VALU_DEP_4)
	v_fma_f64 v[32:33], -v[58:59], v[80:81], v[32:33]
	v_fma_f64 v[30:31], -v[56:57], v[80:81], v[30:31]
	global_store_b64 v[4:5], v[58:59], off
	global_store_b64 v[2:3], v[56:57], off
	;; [unrolled: 1-line block ×14, first 2 shown]
	s_clause 0x2
	global_store_b64 v[78:79], v[66:67], off
	global_store_b64 v[26:27], v[32:33], off
	;; [unrolled: 1-line block ×3, first 2 shown]
.LBB4_5:                                ;   in Loop: Header=BB4_6 Depth=1
	s_or_b32 exec_lo, exec_lo, s27
	v_add_nc_u32_e32 v60, s17, v60
	v_add_nc_u32_e32 v61, s17, v61
	;; [unrolled: 1-line block ×6, first 2 shown]
	s_add_co_i32 s26, s26, 1
	s_delay_alu instid0(SALU_CYCLE_1)
	s_cmp_eq_u32 s19, s26
	s_cbranch_scc1 .LBB4_11
.LBB4_6:                                ; =>This Inner Loop Header: Depth=1
	s_delay_alu instid0(VALU_DEP_2) | instskip(NEXT) | instid1(VALU_DEP_2)
	v_add_nc_u32_e32 v2, s5, v62
	v_add_nc_u32_e32 v4, s5, v63
	s_mov_b32 s27, exec_lo
	s_delay_alu instid0(VALU_DEP_2) | instskip(NEXT) | instid1(VALU_DEP_2)
	v_ashrrev_i32_e32 v3, 31, v2
	v_ashrrev_i32_e32 v5, 31, v4
	s_delay_alu instid0(VALU_DEP_2) | instskip(NEXT) | instid1(VALU_DEP_2)
	v_lshlrev_b64_e32 v[24:25], 3, v[2:3]
	v_lshlrev_b64_e32 v[16:17], 3, v[4:5]
	s_wait_kmcnt 0x0
	s_delay_alu instid0(VALU_DEP_2) | instskip(SKIP_1) | instid1(VALU_DEP_3)
	v_add_co_u32 v2, vcc_lo, s24, v24
	s_wait_alu 0xfffd
	v_add_co_ci_u32_e64 v3, null, s25, v25, vcc_lo
	s_delay_alu instid0(VALU_DEP_3)
	v_add_co_u32 v4, vcc_lo, s22, v16
	s_wait_alu 0xfffd
	v_add_co_ci_u32_e64 v5, null, s23, v17, vcc_lo
	global_load_b64 v[6:7], v[2:3], off
	global_load_b64 v[10:11], v[4:5], off
	s_wait_loadcnt 0x1
	v_mul_f64_e32 v[8:9], v[6:7], v[6:7]
	s_wait_loadcnt 0x0
	s_delay_alu instid0(VALU_DEP_1) | instskip(NEXT) | instid1(VALU_DEP_1)
	v_fma_f64 v[54:55], v[10:11], v[10:11], v[8:9]
	v_cmpx_neq_f64_e32 0, v[54:55]
	s_cbranch_execz .LBB4_5
; %bb.7:                                ;   in Loop: Header=BB4_6 Depth=1
	v_add_nc_u32_e32 v8, s5, v64
	v_add_nc_u32_e32 v26, s5, v60
	;; [unrolled: 1-line block ×3, first 2 shown]
	s_delay_alu instid0(VALU_DEP_3) | instskip(NEXT) | instid1(VALU_DEP_3)
	v_ashrrev_i32_e32 v9, 31, v8
	v_ashrrev_i32_e32 v27, 31, v26
	s_delay_alu instid0(VALU_DEP_3) | instskip(NEXT) | instid1(VALU_DEP_3)
	v_ashrrev_i32_e32 v29, 31, v28
	v_lshlrev_b64_e32 v[50:51], 3, v[8:9]
	s_delay_alu instid0(VALU_DEP_3) | instskip(NEXT) | instid1(VALU_DEP_3)
	v_lshlrev_b64_e32 v[52:53], 3, v[26:27]
	v_lshlrev_b64_e32 v[28:29], 3, v[28:29]
	s_delay_alu instid0(VALU_DEP_3) | instskip(SKIP_1) | instid1(VALU_DEP_4)
	v_add_co_u32 v8, vcc_lo, s12, v50
	s_wait_alu 0xfffd
	v_add_co_ci_u32_e64 v9, null, s13, v51, vcc_lo
	global_load_b64 v[42:43], v[8:9], off
	s_wait_loadcnt 0x0
	v_fma_f64 v[12:13], v[42:43], v[42:43], v[54:55]
	s_delay_alu instid0(VALU_DEP_1) | instskip(SKIP_2) | instid1(VALU_DEP_1)
	v_cmp_gt_f64_e32 vcc_lo, 0x10000000, v[12:13]
	s_wait_alu 0xfffd
	v_cndmask_b32_e64 v14, 0, 0x100, vcc_lo
	v_ldexp_f64 v[56:57], v[12:13], v14
	v_add_co_u32 v12, s2, s12, v16
	s_wait_alu 0xf1ff
	v_add_co_ci_u32_e64 v13, null, s13, v17, s2
	v_add_co_u32 v14, s2, s14, v16
	s_wait_alu 0xf1ff
	v_add_co_ci_u32_e64 v15, null, s15, v17, s2
	;; [unrolled: 3-line block ×9, first 2 shown]
	global_load_b64 v[38:39], v[12:13], off
	v_rsq_f64_e32 v[58:59], v[56:57]
	global_load_b64 v[46:47], v[14:15], off
	global_load_b64 v[48:49], v[16:17], off
	;; [unrolled: 1-line block ×6, first 2 shown]
	s_clause 0x1
	global_load_b64 v[32:33], v[26:27], off
	global_load_b64 v[30:31], v[28:29], off
	v_cmp_nlt_f64_e64 s2, 0, v[42:43]
	v_mul_f64_e32 v[66:67], v[56:57], v[58:59]
	v_mul_f64_e32 v[58:59], 0.5, v[58:59]
	s_delay_alu instid0(VALU_DEP_1) | instskip(NEXT) | instid1(VALU_DEP_1)
	v_fma_f64 v[68:69], -v[58:59], v[66:67], 0.5
	v_fma_f64 v[66:67], v[66:67], v[68:69], v[66:67]
	v_fma_f64 v[58:59], v[58:59], v[68:69], v[58:59]
	s_delay_alu instid0(VALU_DEP_2) | instskip(NEXT) | instid1(VALU_DEP_1)
	v_fma_f64 v[68:69], -v[66:67], v[66:67], v[56:57]
	v_fma_f64 v[66:67], v[68:69], v[58:59], v[66:67]
	s_delay_alu instid0(VALU_DEP_1) | instskip(NEXT) | instid1(VALU_DEP_1)
	v_fma_f64 v[68:69], -v[66:67], v[66:67], v[56:57]
	v_fma_f64 v[58:59], v[68:69], v[58:59], v[66:67]
	v_cndmask_b32_e64 v66, 0, 0xffffff80, vcc_lo
	v_cmp_class_f64_e64 vcc_lo, v[56:57], 0x260
	s_delay_alu instid0(VALU_DEP_2) | instskip(SKIP_1) | instid1(VALU_DEP_1)
	v_ldexp_f64 v[58:59], v[58:59], v66
	s_wait_alu 0xfffd
	v_dual_cndmask_b32 v59, v59, v57 :: v_dual_cndmask_b32 v58, v58, v56
                                        ; implicit-def: $vgpr56_vgpr57
	s_and_saveexec_b32 s3, s2
	s_wait_alu 0xfffe
	s_xor_b32 s2, exec_lo, s3
	s_cbranch_execz .LBB4_9
; %bb.8:                                ;   in Loop: Header=BB4_6 Depth=1
	v_add_f64_e64 v[56:57], v[42:43], -v[58:59]
                                        ; implicit-def: $vgpr58_vgpr59
.LBB4_9:                                ;   in Loop: Header=BB4_6 Depth=1
	s_wait_alu 0xfffe
	s_and_not1_saveexec_b32 s2, s2
	s_cbranch_execz .LBB4_4
; %bb.10:                               ;   in Loop: Header=BB4_6 Depth=1
	v_add_f64_e32 v[56:57], v[42:43], v[58:59]
	s_branch .LBB4_4
.LBB4_11:
	s_mov_b32 s2, s19
.LBB4_12:
	s_wait_alu 0xfffe
	v_mad_co_u64_u32 v[6:7], null, s2, s18, v[1:2]
	s_mov_b32 s4, exec_lo
	v_add_nc_u32_e32 v2, s18, v6
	s_delay_alu instid0(VALU_DEP_1) | instskip(NEXT) | instid1(VALU_DEP_1)
	v_ashrrev_i32_e32 v3, 31, v2
	v_lshlrev_b64_e32 v[12:13], 3, v[2:3]
	s_wait_kmcnt 0x0
	s_delay_alu instid0(VALU_DEP_1) | instskip(SKIP_1) | instid1(VALU_DEP_2)
	v_add_co_u32 v2, vcc_lo, s22, v12
	s_wait_alu 0xfffd
	v_add_co_ci_u32_e64 v3, null, s23, v13, vcc_lo
	global_load_b64 v[4:5], v[2:3], off
	s_wait_loadcnt 0x0
	v_fma_f64 v[32:33], v[4:5], v[4:5], 0
	s_delay_alu instid0(VALU_DEP_1)
	v_cmpx_neq_f64_e32 0, v[32:33]
	s_cbranch_execz .LBB4_18
; %bb.13:
	v_ashrrev_i32_e32 v7, 31, v6
	v_mad_co_u64_u32 v[30:31], null, s2, s17, v[1:2]
	s_delay_alu instid0(VALU_DEP_2) | instskip(NEXT) | instid1(VALU_DEP_1)
	v_lshlrev_b64_e32 v[26:27], 3, v[6:7]
	v_add_co_u32 v6, vcc_lo, s12, v26
	s_wait_alu 0xfffd
	s_delay_alu instid0(VALU_DEP_2) | instskip(SKIP_3) | instid1(VALU_DEP_1)
	v_add_co_ci_u32_e64 v7, null, s13, v27, vcc_lo
	global_load_b64 v[16:17], v[6:7], off
	s_wait_loadcnt 0x0
	v_fma_f64 v[8:9], v[16:17], v[16:17], v[32:33]
	v_cmp_gt_f64_e32 vcc_lo, 0x10000000, v[8:9]
	s_wait_alu 0xfffd
	v_cndmask_b32_e64 v10, 0, 0x100, vcc_lo
	v_cndmask_b32_e64 v1, 0, 0xffffff80, vcc_lo
	s_delay_alu instid0(VALU_DEP_2)
	v_ldexp_f64 v[34:35], v[8:9], v10
	v_add_co_u32 v8, s2, s12, v12
	s_wait_alu 0xf1ff
	v_add_co_ci_u32_e64 v9, null, s13, v13, s2
	v_add_co_u32 v10, s2, s14, v12
	s_wait_alu 0xf1ff
	v_add_co_ci_u32_e64 v11, null, s15, v13, s2
	;; [unrolled: 3-line block ×3, first 2 shown]
	v_rsq_f64_e32 v[36:37], v[34:35]
	v_cmp_class_f64_e64 vcc_lo, v[34:35], 0x260
	s_delay_alu instid0(TRANS32_DEP_1) | instskip(SKIP_1) | instid1(VALU_DEP_1)
	v_mul_f64_e32 v[38:39], v[34:35], v[36:37]
	v_mul_f64_e32 v[36:37], 0.5, v[36:37]
	v_fma_f64 v[40:41], -v[36:37], v[38:39], 0.5
	s_delay_alu instid0(VALU_DEP_1) | instskip(SKIP_1) | instid1(VALU_DEP_2)
	v_fma_f64 v[38:39], v[38:39], v[40:41], v[38:39]
	v_fma_f64 v[36:37], v[36:37], v[40:41], v[36:37]
	v_fma_f64 v[40:41], -v[38:39], v[38:39], v[34:35]
	s_delay_alu instid0(VALU_DEP_1) | instskip(NEXT) | instid1(VALU_DEP_1)
	v_fma_f64 v[38:39], v[40:41], v[36:37], v[38:39]
	v_fma_f64 v[40:41], -v[38:39], v[38:39], v[34:35]
	s_delay_alu instid0(VALU_DEP_1) | instskip(NEXT) | instid1(VALU_DEP_1)
	v_fma_f64 v[36:37], v[40:41], v[36:37], v[38:39]
	v_ldexp_f64 v[36:37], v[36:37], v1
	s_wait_alu 0xfffd
	s_delay_alu instid0(VALU_DEP_1) | instskip(NEXT) | instid1(VALU_DEP_1)
	v_dual_cndmask_b32 v37, v37, v35 :: v_dual_add_nc_u32 v14, s17, v30
	v_ashrrev_i32_e32 v15, 31, v14
	s_delay_alu instid0(VALU_DEP_3) | instskip(NEXT) | instid1(VALU_DEP_2)
	v_cndmask_b32_e32 v36, v36, v34, vcc_lo
                                        ; implicit-def: $vgpr34_vgpr35
	v_lshlrev_b64_e32 v[28:29], 3, v[14:15]
	s_delay_alu instid0(VALU_DEP_1) | instskip(SKIP_1) | instid1(VALU_DEP_2)
	v_add_co_u32 v14, s2, s6, v28
	s_wait_alu 0xf1ff
	v_add_co_ci_u32_e64 v15, null, s7, v29, s2
	global_load_b64 v[20:21], v[8:9], off
	global_load_b64 v[22:23], v[10:11], off
	global_load_b64 v[24:25], v[12:13], off
	global_load_b64 v[18:19], v[14:15], off
	v_cmp_nlt_f64_e64 s2, 0, v[16:17]
	s_and_saveexec_b32 s3, s2
	s_wait_alu 0xfffe
	s_xor_b32 s2, exec_lo, s3
	s_cbranch_execz .LBB4_15
; %bb.14:
	v_add_f64_e64 v[34:35], v[16:17], -v[36:37]
                                        ; implicit-def: $vgpr36_vgpr37
.LBB4_15:
	s_wait_alu 0xfffe
	s_and_not1_saveexec_b32 s2, s2
	s_cbranch_execz .LBB4_17
; %bb.16:
	v_add_f64_e32 v[34:35], v[16:17], v[36:37]
.LBB4_17:
	s_wait_alu 0xfffe
	s_or_b32 exec_lo, exec_lo, s2
	s_delay_alu instid0(VALU_DEP_1)
	v_div_scale_f64 v[36:37], null, v[34:35], v[34:35], v[4:5]
	v_div_scale_f64 v[38:39], null, v[34:35], v[34:35], 0
	v_mul_f64_e32 v[42:43], v[34:35], v[34:35]
	v_fma_f64 v[32:33], v[34:35], v[34:35], v[32:33]
	v_ashrrev_i32_e32 v31, 31, v30
	v_div_scale_f64 v[60:61], s2, 0, v[34:35], 0
	s_delay_alu instid0(VALU_DEP_2) | instskip(SKIP_3) | instid1(TRANS32_DEP_2)
	v_lshlrev_b64_e32 v[30:31], 3, v[30:31]
	v_rcp_f64_e32 v[40:41], v[36:37]
	v_rcp_f64_e32 v[44:45], v[38:39]
	v_add_f64_e32 v[42:43], v[42:43], v[42:43]
	v_fma_f64 v[46:47], -v[36:37], v[40:41], 1.0
	s_delay_alu instid0(TRANS32_DEP_1) | instskip(NEXT) | instid1(VALU_DEP_3)
	v_fma_f64 v[48:49], -v[38:39], v[44:45], 1.0
	v_div_scale_f64 v[52:53], null, v[32:33], v[32:33], v[42:43]
	s_delay_alu instid0(VALU_DEP_3)
	v_fma_f64 v[40:41], v[40:41], v[46:47], v[40:41]
	v_add_co_u32 v46, vcc_lo, s8, v30
	s_wait_alu 0xfffd
	v_add_co_ci_u32_e64 v47, null, s9, v31, vcc_lo
	v_fma_f64 v[44:45], v[44:45], v[48:49], v[44:45]
	v_rcp_f64_e32 v[54:55], v[52:53]
	v_div_scale_f64 v[58:59], vcc_lo, v[4:5], v[34:35], v[4:5]
	global_load_b64 v[50:51], v[46:47], off
	v_fma_f64 v[48:49], -v[36:37], v[40:41], 1.0
	v_fma_f64 v[56:57], -v[38:39], v[44:45], 1.0
	s_delay_alu instid0(VALU_DEP_2) | instskip(SKIP_1) | instid1(VALU_DEP_3)
	v_fma_f64 v[40:41], v[40:41], v[48:49], v[40:41]
	v_fma_f64 v[48:49], -v[52:53], v[54:55], 1.0
	v_fma_f64 v[44:45], v[44:45], v[56:57], v[44:45]
	s_delay_alu instid0(VALU_DEP_3) | instskip(NEXT) | instid1(VALU_DEP_3)
	v_mul_f64_e32 v[56:57], v[58:59], v[40:41]
	v_fma_f64 v[48:49], v[54:55], v[48:49], v[54:55]
	s_delay_alu instid0(VALU_DEP_3) | instskip(NEXT) | instid1(VALU_DEP_3)
	v_mul_f64_e32 v[54:55], v[60:61], v[44:45]
	v_fma_f64 v[36:37], -v[36:37], v[56:57], v[58:59]
	s_delay_alu instid0(VALU_DEP_3) | instskip(NEXT) | instid1(VALU_DEP_3)
	v_fma_f64 v[58:59], -v[52:53], v[48:49], 1.0
	v_fma_f64 v[38:39], -v[38:39], v[54:55], v[60:61]
	s_wait_alu 0xfffd
	s_delay_alu instid0(VALU_DEP_3) | instskip(SKIP_1) | instid1(VALU_DEP_4)
	v_div_fmas_f64 v[36:37], v[36:37], v[40:41], v[56:57]
	v_div_scale_f64 v[40:41], s3, v[42:43], v[32:33], v[42:43]
	v_fma_f64 v[48:49], v[48:49], v[58:59], v[48:49]
	s_mov_b32 vcc_lo, s2
	s_wait_alu 0xfffe
	s_delay_alu instid0(VALU_DEP_4) | instskip(NEXT) | instid1(VALU_DEP_4)
	v_div_fmas_f64 v[38:39], v[38:39], v[44:45], v[54:55]
	v_div_fixup_f64 v[36:37], v[36:37], v[34:35], v[4:5]
	s_delay_alu instid0(VALU_DEP_3) | instskip(NEXT) | instid1(VALU_DEP_3)
	v_mul_f64_e32 v[44:45], v[40:41], v[48:49]
	v_div_fixup_f64 v[34:35], v[38:39], v[34:35], 0
	s_delay_alu instid0(VALU_DEP_3) | instskip(SKIP_1) | instid1(VALU_DEP_4)
	v_fma_f64 v[38:39], v[36:37], v[36:37], 1.0
	v_fma_f64 v[4:5], v[36:37], v[4:5], v[16:17]
	v_fma_f64 v[40:41], -v[52:53], v[44:45], v[40:41]
	v_add_co_u32 v52, vcc_lo, s14, v26
	s_wait_alu 0xfffd
	v_add_co_ci_u32_e64 v53, null, s15, v27, vcc_lo
	v_add_co_u32 v26, vcc_lo, s20, v26
	s_wait_alu 0xfffd
	v_add_co_ci_u32_e64 v27, null, s21, v27, vcc_lo
	;; [unrolled: 3-line block ×5, first 2 shown]
	s_mov_b32 vcc_lo, s3
	global_load_b64 v[54:55], v[52:53], off
	global_load_b64 v[56:57], v[26:27], off
	;; [unrolled: 1-line block ×4, first 2 shown]
	v_fma_f64 v[38:39], v[34:35], v[34:35], v[38:39]
	v_fma_f64 v[4:5], v[34:35], 0, v[4:5]
	s_wait_alu 0xfffe
	v_div_fmas_f64 v[40:41], v[40:41], v[48:49], v[44:45]
	global_load_b64 v[48:49], v[30:31], off
	s_wait_loadcnt 0x5
	v_fma_f64 v[44:45], v[36:37], v[24:25], v[50:51]
	v_div_scale_f64 v[64:65], null, v[38:39], v[38:39], 2.0
	v_div_fixup_f64 v[32:33], v[40:41], v[32:33], v[42:43]
	s_delay_alu instid0(VALU_DEP_3) | instskip(NEXT) | instid1(VALU_DEP_3)
	v_fma_f64 v[40:41], v[34:35], 0, v[44:45]
	v_rcp_f64_e32 v[42:43], v[64:65]
	s_delay_alu instid0(VALU_DEP_2) | instskip(NEXT) | instid1(VALU_DEP_2)
	v_fma_f64 v[4:5], -v[4:5], v[32:33], v[16:17]
	v_fma_f64 v[44:45], -v[32:33], v[40:41], v[50:51]
	v_mul_f64_e32 v[40:41], v[32:33], v[40:41]
	s_delay_alu instid0(TRANS32_DEP_1)
	v_fma_f64 v[50:51], -v[64:65], v[42:43], 1.0
	global_store_b64 v[46:47], v[44:45], off
	global_load_b64 v[44:45], v[28:29], off
	v_fma_f64 v[24:25], -v[40:41], v[36:37], v[24:25]
	v_fma_f64 v[42:43], v[42:43], v[50:51], v[42:43]
	v_div_scale_f64 v[50:51], vcc_lo, 2.0, v[38:39], 2.0
	s_delay_alu instid0(VALU_DEP_2) | instskip(NEXT) | instid1(VALU_DEP_1)
	v_fma_f64 v[46:47], -v[64:65], v[42:43], 1.0
	v_fma_f64 v[42:43], v[42:43], v[46:47], v[42:43]
	s_delay_alu instid0(VALU_DEP_1) | instskip(NEXT) | instid1(VALU_DEP_1)
	v_mul_f64_e32 v[46:47], v[50:51], v[42:43]
	v_fma_f64 v[50:51], -v[64:65], v[46:47], v[50:51]
	s_wait_loadcnt 0x5
	v_fma_f64 v[64:65], v[36:37], v[20:21], v[54:55]
	s_wait_loadcnt 0x4
	v_fma_f64 v[66:67], v[36:37], v[22:23], v[56:57]
	;; [unrolled: 2-line block ×3, first 2 shown]
	s_wait_alu 0xfffd
	s_delay_alu instid0(VALU_DEP_4)
	v_div_fmas_f64 v[42:43], v[50:51], v[42:43], v[46:47]
	s_wait_loadcnt 0x1
	v_fma_f64 v[46:47], v[36:37], v[18:19], v[48:49]
	v_fma_f64 v[50:51], v[34:35], 0, v[64:65]
	;; [unrolled: 1-line block ×4, first 2 shown]
	v_div_fixup_f64 v[38:39], v[42:43], v[38:39], 2.0
	v_fma_f64 v[42:43], v[34:35], 0, v[46:47]
	v_mul_f64_e32 v[34:35], v[50:51], v[32:33]
	v_mul_f64_e32 v[46:47], v[32:33], v[64:65]
	;; [unrolled: 1-line block ×3, first 2 shown]
	v_fma_f64 v[16:17], -v[50:51], v[32:33], v[54:55]
	v_fma_f64 v[50:51], -v[32:33], v[64:65], v[56:57]
	;; [unrolled: 1-line block ×3, first 2 shown]
	v_mul_f64_e32 v[68:69], v[38:39], v[42:43]
	v_fma_f64 v[38:39], -v[38:39], v[42:43], v[48:49]
	v_fma_f64 v[20:21], -v[34:35], v[36:37], v[20:21]
	v_fma_f64 v[22:23], -v[46:47], v[36:37], v[22:23]
	s_delay_alu instid0(VALU_DEP_4)
	v_fma_f64 v[18:19], -v[36:37], v[68:69], v[18:19]
	s_wait_loadcnt 0x0
	v_fma_f64 v[34:35], -v[66:67], v[36:37], v[44:45]
	global_store_b64 v[6:7], v[4:5], off
	global_store_b64 v[52:53], v[16:17], off
	;; [unrolled: 1-line block ×11, first 2 shown]
.LBB4_18:
	s_wait_alu 0xfffe
	s_or_b32 exec_lo, exec_lo, s4
.LBB4_19:
	s_cmp_lt_i32 s16, 1
	s_cbranch_scc1 .LBB4_32
; %bb.20:
	v_mad_co_u64_u32 v[1:2], null, s18, s16, v[0:1]
	s_load_b64 s[0:1], s[0:1], 0x38
	s_add_co_i32 s2, s16, 3
	s_wait_alu 0xfffe
	v_mad_co_u64_u32 v[2:3], null, s18, s2, v[0:1]
	s_add_co_i32 s2, s16, 2
	s_wait_alu 0xfffe
	v_mad_co_u64_u32 v[3:4], null, s18, s2, v[0:1]
	;; [unrolled: 3-line block ×3, first 2 shown]
	s_add_co_i32 s2, s16, -1
	s_wait_alu 0xfffe
	v_mad_co_u64_u32 v[5:6], null, s18, s2, v[0:1]
	v_mad_co_u64_u32 v[6:7], null, s17, s2, v[0:1]
	s_mov_b32 s2, s16
	s_branch .LBB4_22
.LBB4_21:                               ;   in Loop: Header=BB4_22 Depth=1
	s_wait_kmcnt 0x0
	v_add_co_u32 v11, vcc_lo, s6, v11
	s_wait_alu 0xfffd
	v_add_co_ci_u32_e64 v12, null, s7, v12, vcc_lo
	v_lshlrev_b64_e32 v[7:8], 3, v[7:8]
	v_subrev_nc_u32_e32 v1, s18, v1
	v_subrev_nc_u32_e32 v2, s18, v2
	global_load_b64 v[11:12], v[11:12], off
	v_subrev_nc_u32_e32 v3, s18, v3
	v_subrev_nc_u32_e32 v4, s18, v4
	v_add_co_u32 v13, vcc_lo, s12, v7
	s_wait_alu 0xfffd
	v_add_co_ci_u32_e64 v14, null, s13, v8, vcc_lo
	v_subrev_nc_u32_e32 v5, s18, v5
	v_subrev_nc_u32_e32 v6, s17, v6
	s_add_co_i32 s3, s2, -1
	global_load_b64 v[13:14], v[13:14], off
	s_cmp_gt_u32 s2, 1
	s_wait_alu 0xfffe
	s_mov_b32 s2, s3
	s_wait_loadcnt 0x1
	v_add_f64_e64 v[9:10], v[11:12], -v[9:10]
	s_wait_loadcnt 0x0
	s_delay_alu instid0(VALU_DEP_1) | instskip(NEXT) | instid1(VALU_DEP_1)
	v_div_scale_f64 v[11:12], null, v[13:14], v[13:14], v[9:10]
	v_rcp_f64_e32 v[15:16], v[11:12]
	s_delay_alu instid0(TRANS32_DEP_1) | instskip(NEXT) | instid1(VALU_DEP_1)
	v_fma_f64 v[17:18], -v[11:12], v[15:16], 1.0
	v_fma_f64 v[15:16], v[15:16], v[17:18], v[15:16]
	s_delay_alu instid0(VALU_DEP_1) | instskip(NEXT) | instid1(VALU_DEP_1)
	v_fma_f64 v[17:18], -v[11:12], v[15:16], 1.0
	v_fma_f64 v[15:16], v[15:16], v[17:18], v[15:16]
	v_div_scale_f64 v[17:18], vcc_lo, v[9:10], v[13:14], v[9:10]
	s_delay_alu instid0(VALU_DEP_1) | instskip(NEXT) | instid1(VALU_DEP_1)
	v_mul_f64_e32 v[19:20], v[17:18], v[15:16]
	v_fma_f64 v[11:12], -v[11:12], v[19:20], v[17:18]
	s_wait_alu 0xfffd
	s_delay_alu instid0(VALU_DEP_1) | instskip(SKIP_3) | instid1(VALU_DEP_3)
	v_div_fmas_f64 v[11:12], v[11:12], v[15:16], v[19:20]
	v_add_co_u32 v7, vcc_lo, s0, v7
	s_wait_alu 0xfffd
	v_add_co_ci_u32_e64 v8, null, s1, v8, vcc_lo
	v_div_fixup_f64 v[9:10], v[11:12], v[13:14], v[9:10]
	global_store_b64 v[7:8], v[9:10], off
	s_cbranch_scc0 .LBB4_32
.LBB4_22:                               ; =>This Inner Loop Header: Depth=1
	v_add_nc_u32_e32 v7, s5, v5
	v_mov_b32_e32 v9, 0
	v_mov_b32_e32 v10, 0
	s_wait_alu 0xfffe
	s_cmp_ge_i32 s2, s16
	v_ashrrev_i32_e32 v8, 31, v7
	s_cbranch_scc1 .LBB4_24
; %bb.23:                               ;   in Loop: Header=BB4_22 Depth=1
	v_add_nc_u32_e32 v9, s5, v1
	s_delay_alu instid0(VALU_DEP_2) | instskip(NEXT) | instid1(VALU_DEP_2)
	v_lshlrev_b64_e32 v[11:12], 3, v[7:8]
	v_ashrrev_i32_e32 v10, 31, v9
	s_wait_kmcnt 0x0
	s_delay_alu instid0(VALU_DEP_2) | instskip(SKIP_1) | instid1(VALU_DEP_3)
	v_add_co_u32 v11, vcc_lo, s14, v11
	s_wait_alu 0xfffd
	v_add_co_ci_u32_e64 v12, null, s15, v12, vcc_lo
	v_lshlrev_b64_e32 v[9:10], 3, v[9:10]
	s_delay_alu instid0(VALU_DEP_1) | instskip(SKIP_1) | instid1(VALU_DEP_2)
	v_add_co_u32 v9, vcc_lo, s0, v9
	s_wait_alu 0xfffd
	v_add_co_ci_u32_e64 v10, null, s1, v10, vcc_lo
	global_load_b64 v[11:12], v[11:12], off
	global_load_b64 v[9:10], v[9:10], off
	s_wait_loadcnt 0x0
	v_fma_f64 v[9:10], v[11:12], v[9:10], 0
.LBB4_24:                               ;   in Loop: Header=BB4_22 Depth=1
	s_add_co_i32 s3, s2, 1
	s_wait_alu 0xfffe
	s_cmp_ge_i32 s3, s16
	s_cbranch_scc1 .LBB4_26
; %bb.25:                               ;   in Loop: Header=BB4_22 Depth=1
	v_add_nc_u32_e32 v11, s5, v4
	v_lshlrev_b64_e32 v[13:14], 3, v[7:8]
	s_delay_alu instid0(VALU_DEP_2) | instskip(SKIP_1) | instid1(VALU_DEP_2)
	v_ashrrev_i32_e32 v12, 31, v11
	s_wait_kmcnt 0x0
	v_add_co_u32 v13, vcc_lo, s20, v13
	s_wait_alu 0xfffd
	s_delay_alu instid0(VALU_DEP_3) | instskip(SKIP_1) | instid1(VALU_DEP_1)
	v_add_co_ci_u32_e64 v14, null, s21, v14, vcc_lo
	v_lshlrev_b64_e32 v[11:12], 3, v[11:12]
	v_add_co_u32 v11, vcc_lo, s0, v11
	s_wait_alu 0xfffd
	s_delay_alu instid0(VALU_DEP_2)
	v_add_co_ci_u32_e64 v12, null, s1, v12, vcc_lo
	global_load_b64 v[13:14], v[13:14], off
	global_load_b64 v[11:12], v[11:12], off
	s_wait_loadcnt 0x0
	v_fma_f64 v[9:10], v[13:14], v[11:12], v[9:10]
.LBB4_26:                               ;   in Loop: Header=BB4_22 Depth=1
	v_add_nc_u32_e32 v11, s5, v6
	s_add_co_i32 s3, s3, 1
	s_mov_b32 s4, -1
	s_wait_alu 0xfffe
	s_cmp_lt_i32 s3, s16
	s_cbranch_scc0 .LBB4_29
; %bb.27:                               ;   in Loop: Header=BB4_22 Depth=1
	s_and_not1_b32 vcc_lo, exec_lo, s4
	s_wait_alu 0xfffe
	s_cbranch_vccz .LBB4_30
.LBB4_28:                               ;   in Loop: Header=BB4_22 Depth=1
	s_delay_alu instid0(VALU_DEP_1)
	v_lshlrev_b64_e32 v[11:12], 3, v[11:12]
	s_add_co_i32 s3, s3, 1
	s_wait_alu 0xfffe
	s_cmp_ge_i32 s3, s16
	s_cbranch_scc1 .LBB4_21
	s_branch .LBB4_31
.LBB4_29:                               ;   in Loop: Header=BB4_22 Depth=1
	v_ashrrev_i32_e32 v12, 31, v11
	s_cbranch_execnz .LBB4_28
.LBB4_30:                               ;   in Loop: Header=BB4_22 Depth=1
	v_add_nc_u32_e32 v13, s5, v3
	v_ashrrev_i32_e32 v12, 31, v11
	s_delay_alu instid0(VALU_DEP_2) | instskip(NEXT) | instid1(VALU_DEP_2)
	v_ashrrev_i32_e32 v14, 31, v13
	v_lshlrev_b64_e32 v[15:16], 3, v[11:12]
	s_delay_alu instid0(VALU_DEP_2) | instskip(SKIP_1) | instid1(VALU_DEP_2)
	v_lshlrev_b64_e32 v[13:14], 3, v[13:14]
	s_wait_kmcnt 0x0
	v_add_co_u32 v15, vcc_lo, s8, v15
	s_wait_alu 0xfffd
	s_delay_alu instid0(VALU_DEP_3) | instskip(NEXT) | instid1(VALU_DEP_3)
	v_add_co_ci_u32_e64 v16, null, s9, v16, vcc_lo
	v_add_co_u32 v13, vcc_lo, s0, v13
	s_wait_alu 0xfffd
	v_add_co_ci_u32_e64 v14, null, s1, v14, vcc_lo
	global_load_b64 v[15:16], v[15:16], off
	global_load_b64 v[13:14], v[13:14], off
	s_wait_loadcnt 0x0
	v_fma_f64 v[9:10], v[15:16], v[13:14], v[9:10]
	v_lshlrev_b64_e32 v[11:12], 3, v[11:12]
	s_add_co_i32 s3, s3, 1
	s_wait_alu 0xfffe
	s_cmp_ge_i32 s3, s16
	s_cbranch_scc1 .LBB4_21
.LBB4_31:                               ;   in Loop: Header=BB4_22 Depth=1
	v_add_nc_u32_e32 v13, s5, v2
	s_wait_kmcnt 0x0
	v_add_co_u32 v15, vcc_lo, s10, v11
	s_wait_alu 0xfffd
	v_add_co_ci_u32_e64 v16, null, s11, v12, vcc_lo
	v_ashrrev_i32_e32 v14, 31, v13
	s_delay_alu instid0(VALU_DEP_1) | instskip(NEXT) | instid1(VALU_DEP_1)
	v_lshlrev_b64_e32 v[13:14], 3, v[13:14]
	v_add_co_u32 v13, vcc_lo, s0, v13
	s_wait_alu 0xfffd
	s_delay_alu instid0(VALU_DEP_2)
	v_add_co_ci_u32_e64 v14, null, s1, v14, vcc_lo
	global_load_b64 v[15:16], v[15:16], off
	global_load_b64 v[13:14], v[13:14], off
	s_wait_loadcnt 0x0
	v_fma_f64 v[9:10], v[15:16], v[13:14], v[9:10]
	s_branch .LBB4_21
.LBB4_32:
	s_endpgm
	.section	.rodata,"a",@progbits
	.p2align	6, 0x0
	.amdhsa_kernel _ZN9rocsparseL44gpsv_interleaved_batch_householder_qr_kernelILj256EdEEviiiPT0_S2_S2_S2_S2_S2_S2_S2_S2_
		.amdhsa_group_segment_fixed_size 0
		.amdhsa_private_segment_fixed_size 0
		.amdhsa_kernarg_size 344
		.amdhsa_user_sgpr_count 2
		.amdhsa_user_sgpr_dispatch_ptr 0
		.amdhsa_user_sgpr_queue_ptr 0
		.amdhsa_user_sgpr_kernarg_segment_ptr 1
		.amdhsa_user_sgpr_dispatch_id 0
		.amdhsa_user_sgpr_private_segment_size 0
		.amdhsa_wavefront_size32 1
		.amdhsa_uses_dynamic_stack 0
		.amdhsa_enable_private_segment 0
		.amdhsa_system_sgpr_workgroup_id_x 1
		.amdhsa_system_sgpr_workgroup_id_y 0
		.amdhsa_system_sgpr_workgroup_id_z 0
		.amdhsa_system_sgpr_workgroup_info 0
		.amdhsa_system_vgpr_workitem_id 0
		.amdhsa_next_free_vgpr 92
		.amdhsa_next_free_sgpr 28
		.amdhsa_reserve_vcc 1
		.amdhsa_float_round_mode_32 0
		.amdhsa_float_round_mode_16_64 0
		.amdhsa_float_denorm_mode_32 3
		.amdhsa_float_denorm_mode_16_64 3
		.amdhsa_fp16_overflow 0
		.amdhsa_workgroup_processor_mode 1
		.amdhsa_memory_ordered 1
		.amdhsa_forward_progress 1
		.amdhsa_inst_pref_size 37
		.amdhsa_round_robin_scheduling 0
		.amdhsa_exception_fp_ieee_invalid_op 0
		.amdhsa_exception_fp_denorm_src 0
		.amdhsa_exception_fp_ieee_div_zero 0
		.amdhsa_exception_fp_ieee_overflow 0
		.amdhsa_exception_fp_ieee_underflow 0
		.amdhsa_exception_fp_ieee_inexact 0
		.amdhsa_exception_int_div_zero 0
	.end_amdhsa_kernel
	.section	.text._ZN9rocsparseL44gpsv_interleaved_batch_householder_qr_kernelILj256EdEEviiiPT0_S2_S2_S2_S2_S2_S2_S2_S2_,"axG",@progbits,_ZN9rocsparseL44gpsv_interleaved_batch_householder_qr_kernelILj256EdEEviiiPT0_S2_S2_S2_S2_S2_S2_S2_S2_,comdat
.Lfunc_end4:
	.size	_ZN9rocsparseL44gpsv_interleaved_batch_householder_qr_kernelILj256EdEEviiiPT0_S2_S2_S2_S2_S2_S2_S2_S2_, .Lfunc_end4-_ZN9rocsparseL44gpsv_interleaved_batch_householder_qr_kernelILj256EdEEviiiPT0_S2_S2_S2_S2_S2_S2_S2_S2_
                                        ; -- End function
	.set _ZN9rocsparseL44gpsv_interleaved_batch_householder_qr_kernelILj256EdEEviiiPT0_S2_S2_S2_S2_S2_S2_S2_S2_.num_vgpr, 92
	.set _ZN9rocsparseL44gpsv_interleaved_batch_householder_qr_kernelILj256EdEEviiiPT0_S2_S2_S2_S2_S2_S2_S2_S2_.num_agpr, 0
	.set _ZN9rocsparseL44gpsv_interleaved_batch_householder_qr_kernelILj256EdEEviiiPT0_S2_S2_S2_S2_S2_S2_S2_S2_.numbered_sgpr, 28
	.set _ZN9rocsparseL44gpsv_interleaved_batch_householder_qr_kernelILj256EdEEviiiPT0_S2_S2_S2_S2_S2_S2_S2_S2_.num_named_barrier, 0
	.set _ZN9rocsparseL44gpsv_interleaved_batch_householder_qr_kernelILj256EdEEviiiPT0_S2_S2_S2_S2_S2_S2_S2_S2_.private_seg_size, 0
	.set _ZN9rocsparseL44gpsv_interleaved_batch_householder_qr_kernelILj256EdEEviiiPT0_S2_S2_S2_S2_S2_S2_S2_S2_.uses_vcc, 1
	.set _ZN9rocsparseL44gpsv_interleaved_batch_householder_qr_kernelILj256EdEEviiiPT0_S2_S2_S2_S2_S2_S2_S2_S2_.uses_flat_scratch, 0
	.set _ZN9rocsparseL44gpsv_interleaved_batch_householder_qr_kernelILj256EdEEviiiPT0_S2_S2_S2_S2_S2_S2_S2_S2_.has_dyn_sized_stack, 0
	.set _ZN9rocsparseL44gpsv_interleaved_batch_householder_qr_kernelILj256EdEEviiiPT0_S2_S2_S2_S2_S2_S2_S2_S2_.has_recursion, 0
	.set _ZN9rocsparseL44gpsv_interleaved_batch_householder_qr_kernelILj256EdEEviiiPT0_S2_S2_S2_S2_S2_S2_S2_S2_.has_indirect_call, 0
	.section	.AMDGPU.csdata,"",@progbits
; Kernel info:
; codeLenInByte = 4668
; TotalNumSgprs: 30
; NumVgprs: 92
; ScratchSize: 0
; MemoryBound: 0
; FloatMode: 240
; IeeeMode: 1
; LDSByteSize: 0 bytes/workgroup (compile time only)
; SGPRBlocks: 0
; VGPRBlocks: 11
; NumSGPRsForWavesPerEU: 30
; NumVGPRsForWavesPerEU: 92
; Occupancy: 16
; WaveLimiterHint : 0
; COMPUTE_PGM_RSRC2:SCRATCH_EN: 0
; COMPUTE_PGM_RSRC2:USER_SGPR: 2
; COMPUTE_PGM_RSRC2:TRAP_HANDLER: 0
; COMPUTE_PGM_RSRC2:TGID_X_EN: 1
; COMPUTE_PGM_RSRC2:TGID_Y_EN: 0
; COMPUTE_PGM_RSRC2:TGID_Z_EN: 0
; COMPUTE_PGM_RSRC2:TIDIG_COMP_CNT: 0
	.section	.text._ZN9rocsparseL39gpsv_interleaved_batch_givens_qr_kernelILj128EdEEviiiPT0_S2_S2_S2_S2_S2_S2_S2_,"axG",@progbits,_ZN9rocsparseL39gpsv_interleaved_batch_givens_qr_kernelILj128EdEEviiiPT0_S2_S2_S2_S2_S2_S2_S2_,comdat
	.globl	_ZN9rocsparseL39gpsv_interleaved_batch_givens_qr_kernelILj128EdEEviiiPT0_S2_S2_S2_S2_S2_S2_S2_ ; -- Begin function _ZN9rocsparseL39gpsv_interleaved_batch_givens_qr_kernelILj128EdEEviiiPT0_S2_S2_S2_S2_S2_S2_S2_
	.p2align	8
	.type	_ZN9rocsparseL39gpsv_interleaved_batch_givens_qr_kernelILj128EdEEviiiPT0_S2_S2_S2_S2_S2_S2_S2_,@function
_ZN9rocsparseL39gpsv_interleaved_batch_givens_qr_kernelILj128EdEEviiiPT0_S2_S2_S2_S2_S2_S2_S2_: ; @_ZN9rocsparseL39gpsv_interleaved_batch_givens_qr_kernelILj128EdEEviiiPT0_S2_S2_S2_S2_S2_S2_S2_
; %bb.0:
	s_load_b96 s[16:18], s[0:1], 0x0
	s_lshl_b32 s19, ttmp9, 7
	s_mov_b32 s2, exec_lo
	v_or_b32_e32 v1, s19, v0
	s_wait_kmcnt 0x0
	s_delay_alu instid0(VALU_DEP_1)
	v_cmpx_gt_i32_e64 s17, v1
	s_cbranch_execz .LBB5_7
; %bb.1:
	s_clause 0x2
	s_load_b64 s[2:3], s[0:1], 0x48
	s_load_b128 s[12:15], s[0:1], 0x38
	s_load_b256 s[4:11], s[0:1], 0x18
	s_add_co_i32 s22, s16, -2
	s_cmp_lt_i32 s16, 3
	s_cbranch_scc1 .LBB5_4
; %bb.2:
	s_load_b64 s[20:21], s[0:1], 0x10
	v_dual_mov_b32 v3, v1 :: v_dual_mov_b32 v2, v1
	s_lshl_b32 s1, s18, 1
	s_mov_b32 s23, s22
.LBB5_3:                                ; =>This Inner Loop Header: Depth=1
	s_delay_alu instid0(VALU_DEP_1) | instskip(SKIP_2) | instid1(SALU_CYCLE_1)
	v_add_nc_u32_e32 v4, s1, v3
	v_add_nc_u32_e32 v6, s18, v3
	s_add_co_i32 s23, s23, -1
	s_cmp_eq_u32 s23, 0
	s_delay_alu instid0(VALU_DEP_2) | instskip(NEXT) | instid1(VALU_DEP_2)
	v_ashrrev_i32_e32 v5, 31, v4
	v_ashrrev_i32_e32 v7, 31, v6
	s_delay_alu instid0(VALU_DEP_2) | instskip(NEXT) | instid1(VALU_DEP_2)
	v_lshlrev_b64_e32 v[8:9], 3, v[4:5]
	v_lshlrev_b64_e32 v[12:13], 3, v[6:7]
	s_wait_kmcnt 0x0
	s_delay_alu instid0(VALU_DEP_2) | instskip(SKIP_1) | instid1(VALU_DEP_3)
	v_add_co_u32 v4, vcc_lo, s20, v8
	s_wait_alu 0xfffd
	v_add_co_ci_u32_e64 v5, null, s21, v9, vcc_lo
	s_delay_alu instid0(VALU_DEP_3)
	v_add_co_u32 v14, vcc_lo, s4, v12
	s_wait_alu 0xfffd
	v_add_co_ci_u32_e64 v15, null, s5, v13, vcc_lo
	global_load_b64 v[10:11], v[4:5], off
	v_add_co_u32 v18, vcc_lo, s4, v8
	global_load_b64 v[16:17], v[14:15], off
	s_wait_alu 0xfffd
	v_add_co_ci_u32_e64 v19, null, s5, v9, vcc_lo
	global_load_b64 v[20:21], v[18:19], off
	s_wait_loadcnt 0x2
	v_mul_f64_e32 v[4:5], v[10:11], v[10:11]
	s_wait_loadcnt 0x1
	s_delay_alu instid0(VALU_DEP_1) | instskip(NEXT) | instid1(VALU_DEP_1)
	v_fma_f64 v[4:5], v[16:17], v[16:17], v[4:5]
	v_cmp_gt_f64_e32 vcc_lo, 0x10000000, v[4:5]
	s_wait_alu 0xfffd
	v_cndmask_b32_e64 v7, 0, 0x100, vcc_lo
	s_delay_alu instid0(VALU_DEP_1) | instskip(SKIP_1) | instid1(VALU_DEP_2)
	v_ldexp_f64 v[4:5], v[4:5], v7
	v_cndmask_b32_e64 v7, 0, 0xffffff80, vcc_lo
	v_rsq_f64_e32 v[22:23], v[4:5]
	v_cmp_class_f64_e64 vcc_lo, v[4:5], 0x260
	s_delay_alu instid0(TRANS32_DEP_1) | instskip(SKIP_1) | instid1(VALU_DEP_1)
	v_mul_f64_e32 v[24:25], v[4:5], v[22:23]
	v_mul_f64_e32 v[22:23], 0.5, v[22:23]
	v_fma_f64 v[26:27], -v[22:23], v[24:25], 0.5
	s_delay_alu instid0(VALU_DEP_1) | instskip(SKIP_1) | instid1(VALU_DEP_2)
	v_fma_f64 v[24:25], v[24:25], v[26:27], v[24:25]
	v_fma_f64 v[22:23], v[22:23], v[26:27], v[22:23]
	v_fma_f64 v[26:27], -v[24:25], v[24:25], v[4:5]
	s_delay_alu instid0(VALU_DEP_1) | instskip(NEXT) | instid1(VALU_DEP_1)
	v_fma_f64 v[24:25], v[26:27], v[22:23], v[24:25]
	v_fma_f64 v[26:27], -v[24:25], v[24:25], v[4:5]
	s_delay_alu instid0(VALU_DEP_1) | instskip(NEXT) | instid1(VALU_DEP_1)
	v_fma_f64 v[22:23], v[26:27], v[22:23], v[24:25]
	v_ldexp_f64 v[22:23], v[22:23], v7
	s_wait_alu 0xfffd
	s_delay_alu instid0(VALU_DEP_1) | instskip(SKIP_3) | instid1(VALU_DEP_3)
	v_dual_cndmask_b32 v5, v23, v5 :: v_dual_cndmask_b32 v4, v22, v4
	v_add_co_u32 v26, vcc_lo, s6, v8
	s_wait_alu 0xfffd
	v_add_co_ci_u32_e64 v27, null, s7, v9, vcc_lo
	v_div_scale_f64 v[22:23], null, v[4:5], v[4:5], v[16:17]
	v_div_scale_f64 v[24:25], null, v[4:5], v[4:5], v[10:11]
	v_add_co_u32 v32, vcc_lo, s6, v12
	s_wait_alu 0xfffd
	v_add_co_ci_u32_e64 v33, null, s7, v13, vcc_lo
	s_clause 0x1
	global_load_b64 v[36:37], v[26:27], off
	global_load_b64 v[38:39], v[32:33], off
	v_add_co_u32 v34, vcc_lo, s8, v12
	s_wait_alu 0xfffd
	v_add_co_ci_u32_e64 v35, null, s9, v13, vcc_lo
	v_div_scale_f64 v[46:47], vcc_lo, v[16:17], v[4:5], v[16:17]
	v_div_scale_f64 v[48:49], s0, v[10:11], v[4:5], v[10:11]
	global_load_b64 v[44:45], v[34:35], off
	v_rcp_f64_e32 v[28:29], v[22:23]
	v_rcp_f64_e32 v[30:31], v[24:25]
	s_delay_alu instid0(TRANS32_DEP_2) | instskip(NEXT) | instid1(TRANS32_DEP_1)
	v_fma_f64 v[40:41], -v[22:23], v[28:29], 1.0
	v_fma_f64 v[42:43], -v[24:25], v[30:31], 1.0
	s_delay_alu instid0(VALU_DEP_2) | instskip(NEXT) | instid1(VALU_DEP_2)
	v_fma_f64 v[28:29], v[28:29], v[40:41], v[28:29]
	v_fma_f64 v[30:31], v[30:31], v[42:43], v[30:31]
	s_delay_alu instid0(VALU_DEP_2) | instskip(NEXT) | instid1(VALU_DEP_2)
	v_fma_f64 v[40:41], -v[22:23], v[28:29], 1.0
	v_fma_f64 v[42:43], -v[24:25], v[30:31], 1.0
	s_delay_alu instid0(VALU_DEP_2) | instskip(NEXT) | instid1(VALU_DEP_2)
	v_fma_f64 v[28:29], v[28:29], v[40:41], v[28:29]
	v_fma_f64 v[30:31], v[30:31], v[42:43], v[30:31]
	s_delay_alu instid0(VALU_DEP_2) | instskip(NEXT) | instid1(VALU_DEP_2)
	v_mul_f64_e32 v[40:41], v[46:47], v[28:29]
	v_mul_f64_e32 v[42:43], v[48:49], v[30:31]
	s_delay_alu instid0(VALU_DEP_2) | instskip(NEXT) | instid1(VALU_DEP_2)
	v_fma_f64 v[22:23], -v[22:23], v[40:41], v[46:47]
	v_fma_f64 v[24:25], -v[24:25], v[42:43], v[48:49]
	s_wait_alu 0xfffd
	s_delay_alu instid0(VALU_DEP_2) | instskip(SKIP_2) | instid1(VALU_DEP_2)
	v_div_fmas_f64 v[22:23], v[22:23], v[28:29], v[40:41]
	s_mov_b32 vcc_lo, s0
	s_wait_alu 0xfffe
	v_div_fmas_f64 v[24:25], v[24:25], v[30:31], v[42:43]
	v_add_co_u32 v30, vcc_lo, s8, v8
	s_wait_alu 0xfffd
	v_add_co_ci_u32_e64 v31, null, s9, v9, vcc_lo
	global_load_b64 v[40:41], v[30:31], off
	v_div_fixup_f64 v[22:23], v[22:23], v[4:5], v[16:17]
	v_div_fixup_f64 v[24:25], v[24:25], v[4:5], v[10:11]
	s_wait_loadcnt 0x3
	s_delay_alu instid0(VALU_DEP_2) | instskip(NEXT) | instid1(VALU_DEP_2)
	v_mul_f64_e32 v[4:5], v[36:37], v[22:23]
	v_mul_f64_e32 v[28:29], v[20:21], v[24:25]
	;; [unrolled: 1-line block ×5, first 2 shown]
	s_wait_loadcnt 0x1
	v_fma_f64 v[42:43], -v[44:45], v[24:25], v[4:5]
	v_ashrrev_i32_e32 v4, 31, v3
	v_fma_f64 v[28:29], v[38:39], v[22:23], v[28:29]
	v_fma_f64 v[10:11], v[16:17], v[22:23], v[10:11]
	;; [unrolled: 1-line block ×3, first 2 shown]
	s_delay_alu instid0(VALU_DEP_4)
	v_lshlrev_b64_e32 v[4:5], 3, v[3:4]
	v_fma_f64 v[20:21], -v[38:39], v[24:25], v[20:21]
	s_clause 0x1
	global_store_b64 v[32:33], v[28:29], off
	global_store_b64 v[26:27], v[42:43], off
	v_add_co_u32 v46, vcc_lo, s6, v4
	s_wait_alu 0xfffd
	v_add_co_ci_u32_e64 v47, null, s7, v5, vcc_lo
	v_mul_f64_e32 v[16:17], v[10:11], v[10:11]
	v_add_co_u32 v42, s0, s2, v8
	global_load_b64 v[26:27], v[46:47], off
	s_wait_alu 0xf1ff
	v_add_co_ci_u32_e64 v43, null, s3, v9, s0
	v_add_co_u32 v50, s0, s2, v12
	s_wait_alu 0xf1ff
	v_add_co_ci_u32_e64 v51, null, s3, v13, s0
	s_clause 0x1
	global_load_b64 v[52:53], v[42:43], off
	global_load_b64 v[54:55], v[50:51], off
	v_add_co_u32 v7, s0, s10, v8
	s_wait_alu 0xf1ff
	v_add_co_ci_u32_e64 v8, null, s11, v9, s0
	v_add_co_u32 v12, s0, s10, v12
	s_wait_alu 0xf1ff
	v_add_co_ci_u32_e64 v13, null, s11, v13, s0
	global_load_b64 v[58:59], v[7:8], off
	v_add_co_u32 v64, s0, s8, v4
	global_load_b64 v[62:63], v[12:13], off
	s_wait_alu 0xf1ff
	v_add_co_ci_u32_e64 v65, null, s9, v5, s0
	s_wait_loadcnt 0x5
	v_mul_f64_e32 v[74:75], v[22:23], v[40:41]
	v_mul_f64_e32 v[40:41], v[24:25], v[40:41]
	s_wait_loadcnt 0x4
	v_fma_f64 v[16:17], v[26:27], v[26:27], v[16:17]
	s_wait_loadcnt 0x3
	v_mul_f64_e32 v[66:67], v[22:23], v[52:53]
	v_mul_f64_e32 v[52:53], v[24:25], v[52:53]
	s_wait_loadcnt 0x1
	v_mul_f64_e32 v[78:79], v[22:23], v[58:59]
	s_wait_loadcnt 0x0
	v_fma_f64 v[74:75], -v[62:63], v[24:25], v[74:75]
	v_fma_f64 v[40:41], v[62:63], v[22:23], v[40:41]
	v_cmp_gt_f64_e32 vcc_lo, 0x10000000, v[16:17]
	v_fma_f64 v[66:67], -v[54:55], v[24:25], v[66:67]
	v_fma_f64 v[52:53], v[54:55], v[22:23], v[52:53]
	s_clause 0x1
	global_store_b64 v[50:51], v[52:53], off
	global_store_b64 v[42:43], v[66:67], off
	s_wait_alu 0xfffd
	v_cndmask_b32_e64 v3, 0, 0x100, vcc_lo
	global_load_b64 v[42:43], v[50:51], off
	v_ldexp_f64 v[16:17], v[16:17], v3
	v_cndmask_b32_e64 v3, 0, 0xffffff80, vcc_lo
	s_delay_alu instid0(VALU_DEP_2) | instskip(SKIP_1) | instid1(TRANS32_DEP_1)
	v_rsq_f64_e32 v[48:49], v[16:17]
	v_cmp_class_f64_e64 vcc_lo, v[16:17], 0x260
	v_mul_f64_e32 v[56:57], v[16:17], v[48:49]
	v_mul_f64_e32 v[48:49], 0.5, v[48:49]
	s_delay_alu instid0(VALU_DEP_1) | instskip(NEXT) | instid1(VALU_DEP_1)
	v_fma_f64 v[60:61], -v[48:49], v[56:57], 0.5
	v_fma_f64 v[56:57], v[56:57], v[60:61], v[56:57]
	v_fma_f64 v[48:49], v[48:49], v[60:61], v[48:49]
	s_delay_alu instid0(VALU_DEP_2) | instskip(NEXT) | instid1(VALU_DEP_1)
	v_fma_f64 v[60:61], -v[56:57], v[56:57], v[16:17]
	v_fma_f64 v[56:57], v[60:61], v[48:49], v[56:57]
	s_delay_alu instid0(VALU_DEP_1) | instskip(NEXT) | instid1(VALU_DEP_1)
	v_fma_f64 v[60:61], -v[56:57], v[56:57], v[16:17]
	v_fma_f64 v[48:49], v[60:61], v[48:49], v[56:57]
	s_delay_alu instid0(VALU_DEP_1) | instskip(SKIP_1) | instid1(VALU_DEP_1)
	v_ldexp_f64 v[48:49], v[48:49], v3
	v_ashrrev_i32_e32 v3, 31, v2
	v_lshlrev_b64_e32 v[60:61], 3, v[2:3]
	s_wait_alu 0xfffd
	s_delay_alu instid0(VALU_DEP_3)
	v_dual_cndmask_b32 v17, v49, v17 :: v_dual_cndmask_b32 v16, v48, v16
	v_add_nc_u32_e32 v56, s17, v2
	v_add_co_u32 v70, vcc_lo, s10, v4
	s_wait_alu 0xfffd
	v_add_co_ci_u32_e64 v71, null, s11, v5, vcc_lo
	v_div_scale_f64 v[48:49], null, v[16:17], v[16:17], v[26:27]
	v_div_scale_f64 v[68:69], null, v[16:17], v[16:17], v[10:11]
	v_ashrrev_i32_e32 v57, 31, v56
	v_add_co_u32 v72, vcc_lo, s12, v60
	s_wait_alu 0xfffd
	v_add_co_ci_u32_e64 v73, null, s13, v61, vcc_lo
	s_delay_alu instid0(VALU_DEP_3) | instskip(SKIP_4) | instid1(VALU_DEP_4)
	v_lshlrev_b64_e32 v[2:3], 3, v[56:57]
	v_mul_f64_e32 v[57:58], v[24:25], v[58:59]
	v_add_co_u32 v4, vcc_lo, s2, v4
	s_wait_alu 0xfffd
	v_add_co_ci_u32_e64 v5, null, s3, v5, vcc_lo
	v_add_co_u32 v44, vcc_lo, s12, v2
	s_wait_alu 0xfffd
	v_add_co_ci_u32_e64 v45, null, s13, v3, vcc_lo
	v_rcp_f64_e32 v[54:55], v[48:49]
	v_rcp_f64_e32 v[76:77], v[68:69]
	global_store_b64 v[44:45], v[57:58], off
	global_load_b64 v[2:3], v[72:73], off
	s_clause 0x1
	global_store_b64 v[34:35], v[36:37], off
	global_store_b64 v[30:31], v[74:75], off
	s_clause 0x1
	global_store_b64 v[12:13], v[40:41], off
	global_store_b64 v[7:8], v[78:79], off
	global_load_b64 v[7:8], v[64:65], off
	global_load_b64 v[30:31], v[70:71], off
	;; [unrolled: 1-line block ×3, first 2 shown]
	v_div_scale_f64 v[78:79], s0, v[10:11], v[16:17], v[10:11]
	v_fma_f64 v[52:53], -v[48:49], v[54:55], 1.0
	v_fma_f64 v[62:63], -v[68:69], v[76:77], 1.0
	s_delay_alu instid0(VALU_DEP_2) | instskip(NEXT) | instid1(VALU_DEP_2)
	v_fma_f64 v[52:53], v[54:55], v[52:53], v[54:55]
	v_fma_f64 v[54:55], v[76:77], v[62:63], v[76:77]
	v_div_scale_f64 v[76:77], vcc_lo, v[26:27], v[16:17], v[26:27]
	s_delay_alu instid0(VALU_DEP_3) | instskip(NEXT) | instid1(VALU_DEP_3)
	v_fma_f64 v[62:63], -v[48:49], v[52:53], 1.0
	v_fma_f64 v[74:75], -v[68:69], v[54:55], 1.0
	s_delay_alu instid0(VALU_DEP_2) | instskip(NEXT) | instid1(VALU_DEP_2)
	v_fma_f64 v[52:53], v[52:53], v[62:63], v[52:53]
	v_fma_f64 v[54:55], v[54:55], v[74:75], v[54:55]
	s_delay_alu instid0(VALU_DEP_2) | instskip(NEXT) | instid1(VALU_DEP_2)
	v_mul_f64_e32 v[62:63], v[76:77], v[52:53]
	v_mul_f64_e32 v[74:75], v[78:79], v[54:55]
	s_delay_alu instid0(VALU_DEP_2) | instskip(NEXT) | instid1(VALU_DEP_2)
	v_fma_f64 v[48:49], -v[48:49], v[62:63], v[76:77]
	v_fma_f64 v[68:69], -v[68:69], v[74:75], v[78:79]
	s_wait_alu 0xfffd
	s_delay_alu instid0(VALU_DEP_2) | instskip(SKIP_2) | instid1(VALU_DEP_2)
	v_div_fmas_f64 v[48:49], v[48:49], v[52:53], v[62:63]
	s_mov_b32 vcc_lo, s0
	s_wait_alu 0xfffe
	v_div_fmas_f64 v[52:53], v[68:69], v[54:55], v[74:75]
	s_delay_alu instid0(VALU_DEP_2) | instskip(NEXT) | instid1(VALU_DEP_2)
	v_div_fixup_f64 v[48:49], v[48:49], v[16:17], v[26:27]
	v_div_fixup_f64 v[16:17], v[52:53], v[16:17], v[10:11]
	s_delay_alu instid0(VALU_DEP_2) | instskip(SKIP_2) | instid1(VALU_DEP_4)
	v_mul_f64_e32 v[22:23], v[28:29], v[48:49]
	v_mul_f64_e32 v[52:53], v[36:37], v[48:49]
	;; [unrolled: 1-line block ×7, first 2 shown]
	s_wait_loadcnt 0x4
	v_mul_f64_e32 v[62:63], v[48:49], v[42:43]
	v_mul_f64_e32 v[42:43], v[16:17], v[42:43]
	;; [unrolled: 1-line block ×4, first 2 shown]
	s_wait_loadcnt 0x2
	v_fma_f64 v[22:23], -v[7:8], v[16:17], v[22:23]
	s_wait_loadcnt 0x1
	v_fma_f64 v[52:53], -v[30:31], v[16:17], v[52:53]
	v_fma_f64 v[54:55], -v[2:3], v[16:17], v[54:55]
	v_fma_f64 v[26:27], v[26:27], v[48:49], v[68:69]
	v_fma_f64 v[7:8], v[7:8], v[48:49], v[28:29]
	;; [unrolled: 1-line block ×4, first 2 shown]
	s_wait_loadcnt 0x0
	v_fma_f64 v[16:17], -v[66:67], v[16:17], v[62:63]
	v_fma_f64 v[36:37], v[66:67], v[48:49], v[42:43]
	v_dual_mov_b32 v3, v6 :: v_dual_mov_b32 v2, v56
	v_add_co_u32 v40, vcc_lo, s14, v60
	s_wait_alu 0xfffd
	v_add_co_ci_u32_e64 v41, null, s15, v61, vcc_lo
	s_clause 0x1
	global_store_b64 v[14:15], v[10:11], off
	global_store_b64 v[18:19], v[20:21], off
	global_store_b64 v[40:41], v[38:39], off
	s_clause 0x1
	global_store_b64 v[46:47], v[26:27], off
	global_store_b64 v[32:33], v[22:23], off
	s_clause 0x1
	global_store_b64 v[64:65], v[7:8], off
	global_store_b64 v[34:35], v[52:53], off
	;; [unrolled: 3-line block ×5, first 2 shown]
	s_cbranch_scc0 .LBB5_3
.LBB5_4:
	s_add_co_i32 s0, s16, -1
	s_wait_alu 0xfffe
	s_mul_i32 s1, s18, s0
	s_wait_alu 0xfffe
	v_add_nc_u32_e32 v2, s1, v1
	s_delay_alu instid0(VALU_DEP_1) | instskip(NEXT) | instid1(VALU_DEP_1)
	v_ashrrev_i32_e32 v3, 31, v2
	v_lshlrev_b64_e32 v[2:3], 3, v[2:3]
	s_wait_kmcnt 0x0
	s_delay_alu instid0(VALU_DEP_1) | instskip(SKIP_1) | instid1(VALU_DEP_2)
	v_add_co_u32 v4, vcc_lo, s4, v2
	s_wait_alu 0xfffd
	v_add_co_ci_u32_e64 v5, null, s5, v3, vcc_lo
	s_sub_co_i32 s4, s1, s18
	s_wait_alu 0xfffe
	v_add_nc_u32_e32 v6, s4, v1
	global_load_b64 v[4:5], v[4:5], off
	v_ashrrev_i32_e32 v7, 31, v6
	s_delay_alu instid0(VALU_DEP_1) | instskip(NEXT) | instid1(VALU_DEP_1)
	v_lshlrev_b64_e32 v[6:7], 3, v[6:7]
	v_add_co_u32 v8, vcc_lo, s6, v6
	s_wait_alu 0xfffd
	s_delay_alu instid0(VALU_DEP_2)
	v_add_co_ci_u32_e64 v9, null, s7, v7, vcc_lo
	v_add_co_u32 v14, vcc_lo, s6, v2
	s_wait_alu 0xfffd
	v_add_co_ci_u32_e64 v15, null, s7, v3, vcc_lo
	s_clause 0x1
	global_load_b64 v[10:11], v[8:9], off
	global_load_b64 v[16:17], v[14:15], off
	s_wait_loadcnt 0x2
	v_mul_f64_e32 v[12:13], v[4:5], v[4:5]
	s_wait_loadcnt 0x1
	s_delay_alu instid0(VALU_DEP_1) | instskip(NEXT) | instid1(VALU_DEP_1)
	v_fma_f64 v[12:13], v[10:11], v[10:11], v[12:13]
	v_cmp_gt_f64_e32 vcc_lo, 0x10000000, v[12:13]
	s_wait_alu 0xfffd
	v_cndmask_b32_e64 v18, 0, 0x100, vcc_lo
	s_delay_alu instid0(VALU_DEP_1) | instskip(NEXT) | instid1(VALU_DEP_1)
	v_ldexp_f64 v[12:13], v[12:13], v18
	v_rsq_f64_e32 v[18:19], v[12:13]
	s_delay_alu instid0(TRANS32_DEP_1) | instskip(SKIP_1) | instid1(VALU_DEP_1)
	v_mul_f64_e32 v[20:21], v[12:13], v[18:19]
	v_mul_f64_e32 v[18:19], 0.5, v[18:19]
	v_fma_f64 v[22:23], -v[18:19], v[20:21], 0.5
	s_delay_alu instid0(VALU_DEP_1) | instskip(SKIP_1) | instid1(VALU_DEP_2)
	v_fma_f64 v[20:21], v[20:21], v[22:23], v[20:21]
	v_fma_f64 v[18:19], v[18:19], v[22:23], v[18:19]
	v_fma_f64 v[22:23], -v[20:21], v[20:21], v[12:13]
	s_delay_alu instid0(VALU_DEP_1) | instskip(NEXT) | instid1(VALU_DEP_1)
	v_fma_f64 v[20:21], v[22:23], v[18:19], v[20:21]
	v_fma_f64 v[22:23], -v[20:21], v[20:21], v[12:13]
	s_delay_alu instid0(VALU_DEP_1) | instskip(SKIP_2) | instid1(VALU_DEP_2)
	v_fma_f64 v[18:19], v[22:23], v[18:19], v[20:21]
	v_cndmask_b32_e64 v20, 0, 0xffffff80, vcc_lo
	v_cmp_class_f64_e64 vcc_lo, v[12:13], 0x260
	v_ldexp_f64 v[18:19], v[18:19], v20
	s_wait_alu 0xfffd
	s_delay_alu instid0(VALU_DEP_1) | instskip(SKIP_3) | instid1(VALU_DEP_3)
	v_dual_cndmask_b32 v13, v19, v13 :: v_dual_cndmask_b32 v12, v18, v12
	v_add_co_u32 v24, vcc_lo, s2, v2
	s_wait_alu 0xfffd
	v_add_co_ci_u32_e64 v25, null, s3, v3, vcc_lo
	v_div_scale_f64 v[18:19], null, v[12:13], v[12:13], v[10:11]
	v_div_scale_f64 v[20:21], null, v[12:13], v[12:13], v[4:5]
	global_load_b64 v[26:27], v[24:25], off
	v_add_co_u32 v32, vcc_lo, s8, v6
	s_wait_alu 0xfffd
	v_add_co_ci_u32_e64 v33, null, s9, v7, vcc_lo
	v_add_co_u32 v34, vcc_lo, s2, v6
	s_wait_alu 0xfffd
	v_add_co_ci_u32_e64 v35, null, s3, v7, vcc_lo
	global_load_b64 v[36:37], v[32:33], off
	global_load_b64 v[38:39], v[34:35], off
	v_div_scale_f64 v[42:43], vcc_lo, v[10:11], v[12:13], v[10:11]
	v_rcp_f64_e32 v[22:23], v[18:19]
	v_rcp_f64_e32 v[28:29], v[20:21]
	s_delay_alu instid0(TRANS32_DEP_2) | instskip(NEXT) | instid1(TRANS32_DEP_1)
	v_fma_f64 v[30:31], -v[18:19], v[22:23], 1.0
	v_fma_f64 v[40:41], -v[20:21], v[28:29], 1.0
	s_delay_alu instid0(VALU_DEP_2) | instskip(NEXT) | instid1(VALU_DEP_2)
	v_fma_f64 v[22:23], v[22:23], v[30:31], v[22:23]
	v_fma_f64 v[28:29], v[28:29], v[40:41], v[28:29]
	s_delay_alu instid0(VALU_DEP_2) | instskip(NEXT) | instid1(VALU_DEP_2)
	v_fma_f64 v[30:31], -v[18:19], v[22:23], 1.0
	v_fma_f64 v[40:41], -v[20:21], v[28:29], 1.0
	s_delay_alu instid0(VALU_DEP_2) | instskip(SKIP_1) | instid1(VALU_DEP_3)
	v_fma_f64 v[22:23], v[22:23], v[30:31], v[22:23]
	v_div_scale_f64 v[30:31], s0, v[4:5], v[12:13], v[4:5]
	v_fma_f64 v[28:29], v[28:29], v[40:41], v[28:29]
	s_delay_alu instid0(VALU_DEP_3) | instskip(NEXT) | instid1(VALU_DEP_2)
	v_mul_f64_e32 v[40:41], v[42:43], v[22:23]
	v_mul_f64_e32 v[44:45], v[30:31], v[28:29]
	s_delay_alu instid0(VALU_DEP_2) | instskip(NEXT) | instid1(VALU_DEP_2)
	v_fma_f64 v[18:19], -v[18:19], v[40:41], v[42:43]
	v_fma_f64 v[20:21], -v[20:21], v[44:45], v[30:31]
	s_wait_alu 0xfffd
	s_delay_alu instid0(VALU_DEP_2) | instskip(SKIP_3) | instid1(VALU_DEP_2)
	v_div_fmas_f64 v[18:19], v[18:19], v[22:23], v[40:41]
	s_mov_b32 vcc_lo, s0
	s_sub_co_i32 s0, s4, s18
	s_wait_alu 0xfffe
	v_div_fmas_f64 v[20:21], v[20:21], v[28:29], v[44:45]
	v_add_co_u32 v28, vcc_lo, s8, v2
	s_wait_alu 0xfffd
	v_add_co_ci_u32_e64 v29, null, s9, v3, vcc_lo
	v_add_co_u32 v6, vcc_lo, s10, v6
	s_wait_alu 0xfffd
	v_add_co_ci_u32_e64 v7, null, s11, v7, vcc_lo
	global_load_b64 v[30:31], v[28:29], off
	global_load_b64 v[42:43], v[6:7], off
	v_div_fixup_f64 v[18:19], v[18:19], v[12:13], v[10:11]
	v_div_fixup_f64 v[12:13], v[20:21], v[12:13], v[4:5]
	s_wait_loadcnt 0x5
	s_delay_alu instid0(VALU_DEP_2) | instskip(SKIP_2) | instid1(VALU_DEP_3)
	v_mul_f64_e32 v[20:21], v[16:17], v[18:19]
	s_wait_loadcnt 0x4
	v_mul_f64_e32 v[22:23], v[18:19], v[26:27]
	v_mul_f64_e32 v[16:17], v[16:17], v[12:13]
	;; [unrolled: 1-line block ×4, first 2 shown]
	s_wait_loadcnt 0x3
	v_fma_f64 v[20:21], -v[36:37], v[12:13], v[20:21]
	s_wait_loadcnt 0x2
	v_fma_f64 v[22:23], -v[38:39], v[12:13], v[22:23]
	v_fma_f64 v[16:17], v[36:37], v[18:19], v[16:17]
	v_fma_f64 v[26:27], v[38:39], v[18:19], v[26:27]
	;; [unrolled: 1-line block ×3, first 2 shown]
	s_delay_alu instid0(VALU_DEP_4) | instskip(SKIP_1) | instid1(VALU_DEP_2)
	v_div_scale_f64 v[40:41], null, v[20:21], v[20:21], v[22:23]
	v_div_scale_f64 v[48:49], vcc_lo, v[22:23], v[20:21], v[22:23]
	v_rcp_f64_e32 v[44:45], v[40:41]
	s_delay_alu instid0(TRANS32_DEP_1) | instskip(NEXT) | instid1(VALU_DEP_1)
	v_fma_f64 v[46:47], -v[40:41], v[44:45], 1.0
	v_fma_f64 v[44:45], v[44:45], v[46:47], v[44:45]
	s_delay_alu instid0(VALU_DEP_1) | instskip(NEXT) | instid1(VALU_DEP_1)
	v_fma_f64 v[46:47], -v[40:41], v[44:45], 1.0
	v_fma_f64 v[44:45], v[44:45], v[46:47], v[44:45]
	s_delay_alu instid0(VALU_DEP_1) | instskip(NEXT) | instid1(VALU_DEP_1)
	v_mul_f64_e32 v[46:47], v[48:49], v[44:45]
	v_fma_f64 v[40:41], -v[40:41], v[46:47], v[48:49]
	s_wait_loadcnt 0x1
	v_mul_f64_e32 v[48:49], v[30:31], v[18:19]
	s_wait_alu 0xfffd
	s_delay_alu instid0(VALU_DEP_2)
	v_div_fmas_f64 v[40:41], v[40:41], v[44:45], v[46:47]
	v_add_co_u32 v2, vcc_lo, s10, v2
	s_wait_alu 0xfffd
	v_add_co_ci_u32_e64 v3, null, s11, v3, vcc_lo
	global_load_b64 v[44:45], v[2:3], off
	s_wait_loadcnt 0x1
	v_fma_f64 v[36:37], -v[42:43], v[12:13], v[48:49]
	s_clause 0x1
	global_store_b64 v[32:33], v[16:17], off
	global_store_b64 v[28:29], v[36:37], off
	;; [unrolled: 1-line block ×3, first 2 shown]
	v_div_fixup_f64 v[22:23], v[40:41], v[20:21], v[22:23]
	global_load_b64 v[10:11], v[32:33], off
	global_store_b64 v[24:25], v[22:23], off
	global_load_b64 v[16:17], v[34:35], off
	s_clause 0x1
	global_store_b64 v[8:9], v[4:5], off
	global_store_b64 v[14:15], v[20:21], off
	global_load_b64 v[4:5], v[8:9], off
	v_mad_co_u64_u32 v[14:15], null, s17, s22, v[1:2]
	s_delay_alu instid0(VALU_DEP_1) | instskip(NEXT) | instid1(VALU_DEP_1)
	v_ashrrev_i32_e32 v15, 31, v14
	v_lshlrev_b64_e32 v[20:21], 3, v[14:15]
	s_wait_loadcnt 0x1
	v_fma_f64 v[8:9], -v[22:23], v[10:11], v[16:17]
	s_delay_alu instid0(VALU_DEP_2) | instskip(SKIP_1) | instid1(VALU_DEP_3)
	v_add_co_u32 v22, vcc_lo, s12, v20
	s_wait_alu 0xfffd
	v_add_co_ci_u32_e64 v23, null, s13, v21, vcc_lo
	global_load_b64 v[26:27], v[22:23], off
	s_wait_loadcnt 0x1
	v_div_scale_f64 v[10:11], null, v[4:5], v[4:5], v[8:9]
	v_div_scale_f64 v[32:33], vcc_lo, v[8:9], v[4:5], v[8:9]
	s_delay_alu instid0(VALU_DEP_2) | instskip(NEXT) | instid1(TRANS32_DEP_1)
	v_rcp_f64_e32 v[16:17], v[10:11]
	v_fma_f64 v[28:29], -v[10:11], v[16:17], 1.0
	s_delay_alu instid0(VALU_DEP_1) | instskip(NEXT) | instid1(VALU_DEP_1)
	v_fma_f64 v[15:16], v[16:17], v[28:29], v[16:17]
	v_fma_f64 v[28:29], -v[10:11], v[15:16], 1.0
	s_delay_alu instid0(VALU_DEP_1) | instskip(NEXT) | instid1(VALU_DEP_1)
	v_fma_f64 v[15:16], v[15:16], v[28:29], v[15:16]
	v_mul_f64_e32 v[28:29], v[32:33], v[15:16]
	s_delay_alu instid0(VALU_DEP_1) | instskip(SKIP_1) | instid1(VALU_DEP_1)
	v_fma_f64 v[10:11], -v[10:11], v[28:29], v[32:33]
	s_wait_alu 0xfffd
	v_div_fmas_f64 v[10:11], v[10:11], v[15:16], v[28:29]
	v_mul_f64_e32 v[15:16], v[18:19], v[44:45]
	v_mul_f64_e32 v[28:29], v[30:31], v[12:13]
	s_delay_alu instid0(VALU_DEP_3) | instskip(SKIP_4) | instid1(VALU_DEP_2)
	v_div_fixup_f64 v[4:5], v[10:11], v[4:5], v[8:9]
	v_add_nc_u32_e32 v8, s17, v14
	v_add_nc_u32_e32 v10, s0, v1
	s_sub_co_i32 s0, s0, s18
	s_cmp_lt_i32 s16, 5
	v_ashrrev_i32_e32 v9, 31, v8
	s_delay_alu instid0(VALU_DEP_2) | instskip(NEXT) | instid1(VALU_DEP_2)
	v_ashrrev_i32_e32 v11, 31, v10
	v_lshlrev_b64_e32 v[30:31], 3, v[8:9]
	s_delay_alu instid0(VALU_DEP_2) | instskip(NEXT) | instid1(VALU_DEP_2)
	v_lshlrev_b64_e32 v[9:10], 3, v[10:11]
	v_add_co_u32 v30, vcc_lo, s12, v30
	s_wait_alu 0xfffd
	s_delay_alu instid0(VALU_DEP_3) | instskip(NEXT) | instid1(VALU_DEP_3)
	v_add_co_ci_u32_e64 v31, null, s13, v31, vcc_lo
	v_add_co_u32 v32, vcc_lo, s8, v9
	s_wait_alu 0xfffd
	v_add_co_ci_u32_e64 v33, null, s9, v10, vcc_lo
	v_add_co_u32 v36, vcc_lo, s2, v9
	s_wait_alu 0xfffd
	v_add_co_ci_u32_e64 v37, null, s3, v10, vcc_lo
	global_load_b64 v[38:39], v[30:31], off
	s_wait_loadcnt 0x1
	v_fma_f64 v[14:15], -v[26:27], v[12:13], v[15:16]
	v_fma_f64 v[16:17], v[42:43], v[18:19], v[28:29]
	global_load_b64 v[28:29], v[32:33], off
	v_add_co_u32 v40, vcc_lo, s10, v9
	s_wait_alu 0xfffd
	v_add_co_ci_u32_e64 v41, null, s11, v10, vcc_lo
	v_add_co_u32 v9, vcc_lo, s6, v9
	global_store_b64 v[34:35], v[4:5], off
	global_load_b64 v[32:33], v[36:37], off
	s_wait_alu 0xfffd
	v_add_co_ci_u32_e64 v10, null, s7, v10, vcc_lo
	s_clause 0x1
	global_store_b64 v[6:7], v[16:17], off
	global_store_b64 v[2:3], v[14:15], off
	global_load_b64 v[2:3], v[40:41], off
	global_load_b64 v[6:7], v[24:25], off
	;; [unrolled: 1-line block ×3, first 2 shown]
	s_wait_loadcnt 0x3
	v_fma_f64 v[4:5], -v[4:5], v[28:29], v[32:33]
	s_wait_loadcnt 0x1
	s_delay_alu instid0(VALU_DEP_1) | instskip(SKIP_1) | instid1(VALU_DEP_1)
	v_fma_f64 v[2:3], -v[2:3], v[6:7], v[4:5]
	s_wait_loadcnt 0x0
	v_div_scale_f64 v[4:5], null, v[9:10], v[9:10], v[2:3]
	v_div_scale_f64 v[16:17], vcc_lo, v[2:3], v[9:10], v[2:3]
	s_delay_alu instid0(VALU_DEP_2) | instskip(NEXT) | instid1(TRANS32_DEP_1)
	v_rcp_f64_e32 v[6:7], v[4:5]
	v_fma_f64 v[14:15], -v[4:5], v[6:7], 1.0
	s_delay_alu instid0(VALU_DEP_1) | instskip(NEXT) | instid1(VALU_DEP_1)
	v_fma_f64 v[6:7], v[6:7], v[14:15], v[6:7]
	v_fma_f64 v[14:15], -v[4:5], v[6:7], 1.0
	s_delay_alu instid0(VALU_DEP_1) | instskip(NEXT) | instid1(VALU_DEP_1)
	v_fma_f64 v[6:7], v[6:7], v[14:15], v[6:7]
	v_mul_f64_e32 v[14:15], v[16:17], v[6:7]
	s_delay_alu instid0(VALU_DEP_1) | instskip(SKIP_1) | instid1(VALU_DEP_1)
	v_fma_f64 v[4:5], -v[4:5], v[14:15], v[16:17]
	s_wait_alu 0xfffd
	v_div_fmas_f64 v[4:5], v[4:5], v[6:7], v[14:15]
	v_mul_f64_e32 v[14:15], v[12:13], v[44:45]
	v_mul_f64_e32 v[11:12], v[12:13], v[38:39]
	s_delay_alu instid0(VALU_DEP_3) | instskip(SKIP_2) | instid1(VALU_DEP_4)
	v_div_fixup_f64 v[2:3], v[4:5], v[9:10], v[2:3]
	s_wait_alu 0xfffe
	v_add_nc_u32_e32 v4, s0, v1
	v_fma_f64 v[14:15], v[26:27], v[18:19], v[14:15]
	v_mul_f64_e32 v[18:19], v[18:19], v[38:39]
	s_delay_alu instid0(VALU_DEP_3) | instskip(NEXT) | instid1(VALU_DEP_1)
	v_ashrrev_i32_e32 v5, 31, v4
	v_lshlrev_b64_e32 v[4:5], 3, v[4:5]
	s_delay_alu instid0(VALU_DEP_1) | instskip(SKIP_1) | instid1(VALU_DEP_2)
	v_add_co_u32 v6, vcc_lo, s8, v4
	s_wait_alu 0xfffd
	v_add_co_ci_u32_e64 v7, null, s9, v5, vcc_lo
	v_add_co_u32 v9, vcc_lo, s2, v4
	s_wait_alu 0xfffd
	v_add_co_ci_u32_e64 v10, null, s3, v5, vcc_lo
	global_load_b64 v[6:7], v[6:7], off
	v_add_co_u32 v28, vcc_lo, s10, v4
	s_wait_alu 0xfffd
	v_add_co_ci_u32_e64 v29, null, s11, v5, vcc_lo
	v_mad_co_u64_u32 v[32:33], null, s17, -3, v[8:9]
	global_store_b64 v[36:37], v[2:3], off
	global_load_b64 v[16:17], v[9:10], off
	global_load_b64 v[26:27], v[28:29], off
	;; [unrolled: 1-line block ×3, first 2 shown]
	v_ashrrev_i32_e32 v33, 31, v32
	s_clause 0x1
	global_store_b64 v[22:23], v[14:15], off
	global_store_b64 v[30:31], v[18:19], off
	v_lshlrev_b64_e32 v[32:33], 3, v[32:33]
	s_delay_alu instid0(VALU_DEP_1) | instskip(SKIP_1) | instid1(VALU_DEP_2)
	v_add_co_u32 v32, vcc_lo, s12, v32
	s_wait_alu 0xfffd
	v_add_co_ci_u32_e64 v33, null, s13, v33, vcc_lo
	global_load_b64 v[14:15], v[32:33], off
	global_load_b64 v[18:19], v[24:25], off
	v_add_co_u32 v4, vcc_lo, s6, v4
	s_wait_alu 0xfffd
	v_add_co_ci_u32_e64 v5, null, s7, v5, vcc_lo
	global_load_b64 v[4:5], v[4:5], off
	s_wait_loadcnt 0x5
	v_fma_f64 v[1:2], -v[2:3], v[6:7], v[16:17]
	s_wait_loadcnt 0x3
	s_delay_alu instid0(VALU_DEP_1) | instskip(SKIP_1) | instid1(VALU_DEP_1)
	v_fma_f64 v[1:2], -v[26:27], v[28:29], v[1:2]
	s_wait_loadcnt 0x1
	v_fma_f64 v[1:2], -v[14:15], v[18:19], v[1:2]
	s_wait_loadcnt 0x0
	s_delay_alu instid0(VALU_DEP_1) | instskip(NEXT) | instid1(VALU_DEP_1)
	v_div_scale_f64 v[6:7], null, v[4:5], v[4:5], v[1:2]
	v_rcp_f64_e32 v[14:15], v[6:7]
	s_delay_alu instid0(TRANS32_DEP_1) | instskip(NEXT) | instid1(VALU_DEP_1)
	v_fma_f64 v[16:17], -v[6:7], v[14:15], 1.0
	v_fma_f64 v[14:15], v[14:15], v[16:17], v[14:15]
	s_delay_alu instid0(VALU_DEP_1) | instskip(NEXT) | instid1(VALU_DEP_1)
	v_fma_f64 v[16:17], -v[6:7], v[14:15], 1.0
	v_fma_f64 v[14:15], v[14:15], v[16:17], v[14:15]
	v_div_scale_f64 v[16:17], vcc_lo, v[1:2], v[4:5], v[1:2]
	s_delay_alu instid0(VALU_DEP_1) | instskip(NEXT) | instid1(VALU_DEP_1)
	v_mul_f64_e32 v[18:19], v[16:17], v[14:15]
	v_fma_f64 v[6:7], -v[6:7], v[18:19], v[16:17]
	s_wait_alu 0xfffd
	s_delay_alu instid0(VALU_DEP_1) | instskip(SKIP_1) | instid1(VALU_DEP_2)
	v_div_fmas_f64 v[6:7], v[6:7], v[14:15], v[18:19]
	v_add_co_u32 v3, vcc_lo, s14, v20
	v_div_fixup_f64 v[1:2], v[6:7], v[4:5], v[1:2]
	s_wait_alu 0xfffd
	v_add_co_ci_u32_e64 v4, null, s15, v21, vcc_lo
	global_store_b64 v[3:4], v[11:12], off
	global_store_b64 v[9:10], v[1:2], off
	s_cbranch_scc1 .LBB5_7
; %bb.5:
	s_add_co_i32 s4, s16, -5
	s_add_co_i32 s0, s16, -4
	s_wait_alu 0xfffe
	v_mad_co_u64_u32 v[1:2], null, s17, s4, v[0:1]
	s_add_co_i32 s5, s16, -3
	v_mad_co_u64_u32 v[2:3], null, s18, s0, v[0:1]
	s_wait_alu 0xfffe
	v_mad_co_u64_u32 v[3:4], null, s18, s5, v[0:1]
	v_mad_co_u64_u32 v[4:5], null, s18, s22, v[0:1]
	;; [unrolled: 1-line block ×3, first 2 shown]
	v_add_nc_u32_e32 v0, s1, v0
.LBB5_6:                                ; =>This Inner Loop Header: Depth=1
	s_delay_alu instid0(VALU_DEP_2)
	v_add_nc_u32_e32 v6, s19, v5
	v_add_nc_u32_e32 v8, s19, v2
	;; [unrolled: 1-line block ×5, first 2 shown]
	v_ashrrev_i32_e32 v7, 31, v6
	v_ashrrev_i32_e32 v9, 31, v8
	;; [unrolled: 1-line block ×5, first 2 shown]
	v_lshlrev_b64_e32 v[6:7], 3, v[6:7]
	v_lshlrev_b64_e32 v[8:9], 3, v[8:9]
	;; [unrolled: 1-line block ×5, first 2 shown]
	v_add_nc_u32_e32 v26, s19, v0
	v_add_co_u32 v10, vcc_lo, s2, v6
	s_wait_alu 0xfffd
	v_add_co_ci_u32_e64 v11, null, s3, v7, vcc_lo
	v_add_co_u32 v12, vcc_lo, s8, v6
	s_wait_alu 0xfffd
	v_add_co_ci_u32_e64 v13, null, s9, v7, vcc_lo
	;; [unrolled: 3-line block ×3, first 2 shown]
	global_load_b64 v[14:15], v[10:11], off
	global_load_b64 v[12:13], v[12:13], off
	;; [unrolled: 1-line block ×3, first 2 shown]
	v_add_co_u32 v18, vcc_lo, s10, v6
	s_wait_alu 0xfffd
	v_add_co_ci_u32_e64 v19, null, s11, v7, vcc_lo
	v_add_co_u32 v16, vcc_lo, s2, v16
	s_wait_alu 0xfffd
	v_add_co_ci_u32_e64 v17, null, s3, v17, vcc_lo
	global_load_b64 v[18:19], v[18:19], off
	global_load_b64 v[16:17], v[16:17], off
	v_add_co_u32 v24, vcc_lo, s12, v20
	s_wait_alu 0xfffd
	v_add_co_ci_u32_e64 v25, null, s13, v21, vcc_lo
	v_add_co_u32 v22, vcc_lo, s2, v22
	s_wait_alu 0xfffd
	v_add_co_ci_u32_e64 v23, null, s3, v23, vcc_lo
	global_load_b64 v[24:25], v[24:25], off
	global_load_b64 v[22:23], v[22:23], off
	v_ashrrev_i32_e32 v27, 31, v26
	v_add_co_u32 v20, vcc_lo, s14, v20
	s_wait_alu 0xfffd
	v_add_co_ci_u32_e64 v21, null, s15, v21, vcc_lo
	s_delay_alu instid0(VALU_DEP_3)
	v_lshlrev_b64_e32 v[26:27], 3, v[26:27]
	v_subrev_nc_u32_e32 v1, s17, v1
	v_subrev_nc_u32_e32 v2, s18, v2
	;; [unrolled: 1-line block ×5, first 2 shown]
	v_add_co_u32 v26, vcc_lo, s2, v26
	s_wait_alu 0xfffd
	v_add_co_ci_u32_e64 v27, null, s3, v27, vcc_lo
	global_load_b64 v[20:21], v[20:21], off
	global_load_b64 v[26:27], v[26:27], off
	v_add_co_u32 v6, vcc_lo, s6, v6
	s_wait_alu 0xfffd
	v_add_co_ci_u32_e64 v7, null, s7, v7, vcc_lo
	v_subrev_nc_u32_e32 v5, s18, v5
	s_add_co_i32 s0, s0, -1
	global_load_b64 v[6:7], v[6:7], off
	s_wait_alu 0xfffe
	s_cmp_lg_u32 s0, 0
	s_wait_loadcnt 0x7
	v_fma_f64 v[8:9], -v[12:13], v[8:9], v[14:15]
	s_wait_loadcnt 0x5
	s_delay_alu instid0(VALU_DEP_1) | instskip(SKIP_1) | instid1(VALU_DEP_1)
	v_fma_f64 v[8:9], -v[18:19], v[16:17], v[8:9]
	s_wait_loadcnt 0x3
	v_fma_f64 v[8:9], -v[24:25], v[22:23], v[8:9]
	s_wait_loadcnt 0x1
	s_delay_alu instid0(VALU_DEP_1) | instskip(SKIP_1) | instid1(VALU_DEP_1)
	v_fma_f64 v[8:9], -v[20:21], v[26:27], v[8:9]
	s_wait_loadcnt 0x0
	v_div_scale_f64 v[12:13], null, v[6:7], v[6:7], v[8:9]
	v_div_scale_f64 v[18:19], vcc_lo, v[8:9], v[6:7], v[8:9]
	s_delay_alu instid0(VALU_DEP_2) | instskip(NEXT) | instid1(TRANS32_DEP_1)
	v_rcp_f64_e32 v[14:15], v[12:13]
	v_fma_f64 v[16:17], -v[12:13], v[14:15], 1.0
	s_delay_alu instid0(VALU_DEP_1) | instskip(NEXT) | instid1(VALU_DEP_1)
	v_fma_f64 v[14:15], v[14:15], v[16:17], v[14:15]
	v_fma_f64 v[16:17], -v[12:13], v[14:15], 1.0
	s_delay_alu instid0(VALU_DEP_1) | instskip(NEXT) | instid1(VALU_DEP_1)
	v_fma_f64 v[14:15], v[14:15], v[16:17], v[14:15]
	v_mul_f64_e32 v[16:17], v[18:19], v[14:15]
	s_delay_alu instid0(VALU_DEP_1) | instskip(SKIP_1) | instid1(VALU_DEP_1)
	v_fma_f64 v[12:13], -v[12:13], v[16:17], v[18:19]
	s_wait_alu 0xfffd
	v_div_fmas_f64 v[12:13], v[12:13], v[14:15], v[16:17]
	s_delay_alu instid0(VALU_DEP_1)
	v_div_fixup_f64 v[6:7], v[12:13], v[6:7], v[8:9]
	global_store_b64 v[10:11], v[6:7], off
	s_cbranch_scc1 .LBB5_6
.LBB5_7:
	s_endpgm
	.section	.rodata,"a",@progbits
	.p2align	6, 0x0
	.amdhsa_kernel _ZN9rocsparseL39gpsv_interleaved_batch_givens_qr_kernelILj128EdEEviiiPT0_S2_S2_S2_S2_S2_S2_S2_
		.amdhsa_group_segment_fixed_size 0
		.amdhsa_private_segment_fixed_size 0
		.amdhsa_kernarg_size 80
		.amdhsa_user_sgpr_count 2
		.amdhsa_user_sgpr_dispatch_ptr 0
		.amdhsa_user_sgpr_queue_ptr 0
		.amdhsa_user_sgpr_kernarg_segment_ptr 1
		.amdhsa_user_sgpr_dispatch_id 0
		.amdhsa_user_sgpr_private_segment_size 0
		.amdhsa_wavefront_size32 1
		.amdhsa_uses_dynamic_stack 0
		.amdhsa_enable_private_segment 0
		.amdhsa_system_sgpr_workgroup_id_x 1
		.amdhsa_system_sgpr_workgroup_id_y 0
		.amdhsa_system_sgpr_workgroup_id_z 0
		.amdhsa_system_sgpr_workgroup_info 0
		.amdhsa_system_vgpr_workitem_id 0
		.amdhsa_next_free_vgpr 80
		.amdhsa_next_free_sgpr 24
		.amdhsa_reserve_vcc 1
		.amdhsa_float_round_mode_32 0
		.amdhsa_float_round_mode_16_64 0
		.amdhsa_float_denorm_mode_32 3
		.amdhsa_float_denorm_mode_16_64 3
		.amdhsa_fp16_overflow 0
		.amdhsa_workgroup_processor_mode 1
		.amdhsa_memory_ordered 1
		.amdhsa_forward_progress 1
		.amdhsa_inst_pref_size 39
		.amdhsa_round_robin_scheduling 0
		.amdhsa_exception_fp_ieee_invalid_op 0
		.amdhsa_exception_fp_denorm_src 0
		.amdhsa_exception_fp_ieee_div_zero 0
		.amdhsa_exception_fp_ieee_overflow 0
		.amdhsa_exception_fp_ieee_underflow 0
		.amdhsa_exception_fp_ieee_inexact 0
		.amdhsa_exception_int_div_zero 0
	.end_amdhsa_kernel
	.section	.text._ZN9rocsparseL39gpsv_interleaved_batch_givens_qr_kernelILj128EdEEviiiPT0_S2_S2_S2_S2_S2_S2_S2_,"axG",@progbits,_ZN9rocsparseL39gpsv_interleaved_batch_givens_qr_kernelILj128EdEEviiiPT0_S2_S2_S2_S2_S2_S2_S2_,comdat
.Lfunc_end5:
	.size	_ZN9rocsparseL39gpsv_interleaved_batch_givens_qr_kernelILj128EdEEviiiPT0_S2_S2_S2_S2_S2_S2_S2_, .Lfunc_end5-_ZN9rocsparseL39gpsv_interleaved_batch_givens_qr_kernelILj128EdEEviiiPT0_S2_S2_S2_S2_S2_S2_S2_
                                        ; -- End function
	.set _ZN9rocsparseL39gpsv_interleaved_batch_givens_qr_kernelILj128EdEEviiiPT0_S2_S2_S2_S2_S2_S2_S2_.num_vgpr, 80
	.set _ZN9rocsparseL39gpsv_interleaved_batch_givens_qr_kernelILj128EdEEviiiPT0_S2_S2_S2_S2_S2_S2_S2_.num_agpr, 0
	.set _ZN9rocsparseL39gpsv_interleaved_batch_givens_qr_kernelILj128EdEEviiiPT0_S2_S2_S2_S2_S2_S2_S2_.numbered_sgpr, 24
	.set _ZN9rocsparseL39gpsv_interleaved_batch_givens_qr_kernelILj128EdEEviiiPT0_S2_S2_S2_S2_S2_S2_S2_.num_named_barrier, 0
	.set _ZN9rocsparseL39gpsv_interleaved_batch_givens_qr_kernelILj128EdEEviiiPT0_S2_S2_S2_S2_S2_S2_S2_.private_seg_size, 0
	.set _ZN9rocsparseL39gpsv_interleaved_batch_givens_qr_kernelILj128EdEEviiiPT0_S2_S2_S2_S2_S2_S2_S2_.uses_vcc, 1
	.set _ZN9rocsparseL39gpsv_interleaved_batch_givens_qr_kernelILj128EdEEviiiPT0_S2_S2_S2_S2_S2_S2_S2_.uses_flat_scratch, 0
	.set _ZN9rocsparseL39gpsv_interleaved_batch_givens_qr_kernelILj128EdEEviiiPT0_S2_S2_S2_S2_S2_S2_S2_.has_dyn_sized_stack, 0
	.set _ZN9rocsparseL39gpsv_interleaved_batch_givens_qr_kernelILj128EdEEviiiPT0_S2_S2_S2_S2_S2_S2_S2_.has_recursion, 0
	.set _ZN9rocsparseL39gpsv_interleaved_batch_givens_qr_kernelILj128EdEEviiiPT0_S2_S2_S2_S2_S2_S2_S2_.has_indirect_call, 0
	.section	.AMDGPU.csdata,"",@progbits
; Kernel info:
; codeLenInByte = 4980
; TotalNumSgprs: 26
; NumVgprs: 80
; ScratchSize: 0
; MemoryBound: 0
; FloatMode: 240
; IeeeMode: 1
; LDSByteSize: 0 bytes/workgroup (compile time only)
; SGPRBlocks: 0
; VGPRBlocks: 9
; NumSGPRsForWavesPerEU: 26
; NumVGPRsForWavesPerEU: 80
; Occupancy: 16
; WaveLimiterHint : 0
; COMPUTE_PGM_RSRC2:SCRATCH_EN: 0
; COMPUTE_PGM_RSRC2:USER_SGPR: 2
; COMPUTE_PGM_RSRC2:TRAP_HANDLER: 0
; COMPUTE_PGM_RSRC2:TGID_X_EN: 1
; COMPUTE_PGM_RSRC2:TGID_Y_EN: 0
; COMPUTE_PGM_RSRC2:TGID_Z_EN: 0
; COMPUTE_PGM_RSRC2:TIDIG_COMP_CNT: 0
	.section	.text._ZN9rocsparseL19gpsv_strided_gatherILj256E21rocsparse_complex_numIfEEEviiiPKT0_PS3_,"axG",@progbits,_ZN9rocsparseL19gpsv_strided_gatherILj256E21rocsparse_complex_numIfEEEviiiPKT0_PS3_,comdat
	.globl	_ZN9rocsparseL19gpsv_strided_gatherILj256E21rocsparse_complex_numIfEEEviiiPKT0_PS3_ ; -- Begin function _ZN9rocsparseL19gpsv_strided_gatherILj256E21rocsparse_complex_numIfEEEviiiPKT0_PS3_
	.p2align	8
	.type	_ZN9rocsparseL19gpsv_strided_gatherILj256E21rocsparse_complex_numIfEEEviiiPKT0_PS3_,@function
_ZN9rocsparseL19gpsv_strided_gatherILj256E21rocsparse_complex_numIfEEEviiiPKT0_PS3_: ; @_ZN9rocsparseL19gpsv_strided_gatherILj256E21rocsparse_complex_numIfEEEviiiPKT0_PS3_
; %bb.0:
	s_clause 0x1
	s_load_b32 s2, s[0:1], 0x2c
	s_load_b96 s[4:6], s[0:1], 0x0
	s_wait_kmcnt 0x0
	s_and_b32 s2, s2, 0xffff
	s_cmp_gt_i32 s4, 0
	v_mad_co_u64_u32 v[0:1], null, ttmp9, s2, v[0:1]
	s_cselect_b32 s2, -1, 0
	v_cmp_gt_i32_e32 vcc_lo, s5, v0
	s_wait_alu 0xfffe
	s_and_b32 s2, vcc_lo, s2
	s_wait_alu 0xfffe
	s_and_saveexec_b32 s3, s2
	s_cbranch_execz .LBB6_3
; %bb.1:
	s_load_b128 s[0:3], s[0:1], 0x10
	v_mov_b32_e32 v2, v0
.LBB6_2:                                ; =>This Inner Loop Header: Depth=1
	v_ashrrev_i32_e32 v1, 31, v0
	s_add_co_i32 s4, s4, -1
	s_wait_alu 0xfffe
	s_cmp_lg_u32 s4, 0
	s_delay_alu instid0(VALU_DEP_1) | instskip(SKIP_2) | instid1(VALU_DEP_2)
	v_lshlrev_b64_e32 v[3:4], 3, v[0:1]
	v_add_nc_u32_e32 v0, s6, v0
	s_wait_kmcnt 0x0
	v_add_co_u32 v3, vcc_lo, s0, v3
	s_wait_alu 0xfffd
	s_delay_alu instid0(VALU_DEP_3) | instskip(SKIP_2) | instid1(VALU_DEP_1)
	v_add_co_ci_u32_e64 v4, null, s1, v4, vcc_lo
	global_load_b64 v[4:5], v[3:4], off
	v_ashrrev_i32_e32 v3, 31, v2
	v_lshlrev_b64_e32 v[6:7], 3, v[2:3]
	v_add_nc_u32_e32 v2, s5, v2
	s_delay_alu instid0(VALU_DEP_2) | instskip(SKIP_1) | instid1(VALU_DEP_3)
	v_add_co_u32 v6, vcc_lo, s2, v6
	s_wait_alu 0xfffd
	v_add_co_ci_u32_e64 v7, null, s3, v7, vcc_lo
	s_wait_loadcnt 0x0
	global_store_b64 v[6:7], v[4:5], off
	s_cbranch_scc1 .LBB6_2
.LBB6_3:
	s_endpgm
	.section	.rodata,"a",@progbits
	.p2align	6, 0x0
	.amdhsa_kernel _ZN9rocsparseL19gpsv_strided_gatherILj256E21rocsparse_complex_numIfEEEviiiPKT0_PS3_
		.amdhsa_group_segment_fixed_size 0
		.amdhsa_private_segment_fixed_size 0
		.amdhsa_kernarg_size 288
		.amdhsa_user_sgpr_count 2
		.amdhsa_user_sgpr_dispatch_ptr 0
		.amdhsa_user_sgpr_queue_ptr 0
		.amdhsa_user_sgpr_kernarg_segment_ptr 1
		.amdhsa_user_sgpr_dispatch_id 0
		.amdhsa_user_sgpr_private_segment_size 0
		.amdhsa_wavefront_size32 1
		.amdhsa_uses_dynamic_stack 0
		.amdhsa_enable_private_segment 0
		.amdhsa_system_sgpr_workgroup_id_x 1
		.amdhsa_system_sgpr_workgroup_id_y 0
		.amdhsa_system_sgpr_workgroup_id_z 0
		.amdhsa_system_sgpr_workgroup_info 0
		.amdhsa_system_vgpr_workitem_id 0
		.amdhsa_next_free_vgpr 8
		.amdhsa_next_free_sgpr 7
		.amdhsa_reserve_vcc 1
		.amdhsa_float_round_mode_32 0
		.amdhsa_float_round_mode_16_64 0
		.amdhsa_float_denorm_mode_32 3
		.amdhsa_float_denorm_mode_16_64 3
		.amdhsa_fp16_overflow 0
		.amdhsa_workgroup_processor_mode 1
		.amdhsa_memory_ordered 1
		.amdhsa_forward_progress 1
		.amdhsa_inst_pref_size 2
		.amdhsa_round_robin_scheduling 0
		.amdhsa_exception_fp_ieee_invalid_op 0
		.amdhsa_exception_fp_denorm_src 0
		.amdhsa_exception_fp_ieee_div_zero 0
		.amdhsa_exception_fp_ieee_overflow 0
		.amdhsa_exception_fp_ieee_underflow 0
		.amdhsa_exception_fp_ieee_inexact 0
		.amdhsa_exception_int_div_zero 0
	.end_amdhsa_kernel
	.section	.text._ZN9rocsparseL19gpsv_strided_gatherILj256E21rocsparse_complex_numIfEEEviiiPKT0_PS3_,"axG",@progbits,_ZN9rocsparseL19gpsv_strided_gatherILj256E21rocsparse_complex_numIfEEEviiiPKT0_PS3_,comdat
.Lfunc_end6:
	.size	_ZN9rocsparseL19gpsv_strided_gatherILj256E21rocsparse_complex_numIfEEEviiiPKT0_PS3_, .Lfunc_end6-_ZN9rocsparseL19gpsv_strided_gatherILj256E21rocsparse_complex_numIfEEEviiiPKT0_PS3_
                                        ; -- End function
	.set _ZN9rocsparseL19gpsv_strided_gatherILj256E21rocsparse_complex_numIfEEEviiiPKT0_PS3_.num_vgpr, 8
	.set _ZN9rocsparseL19gpsv_strided_gatherILj256E21rocsparse_complex_numIfEEEviiiPKT0_PS3_.num_agpr, 0
	.set _ZN9rocsparseL19gpsv_strided_gatherILj256E21rocsparse_complex_numIfEEEviiiPKT0_PS3_.numbered_sgpr, 7
	.set _ZN9rocsparseL19gpsv_strided_gatherILj256E21rocsparse_complex_numIfEEEviiiPKT0_PS3_.num_named_barrier, 0
	.set _ZN9rocsparseL19gpsv_strided_gatherILj256E21rocsparse_complex_numIfEEEviiiPKT0_PS3_.private_seg_size, 0
	.set _ZN9rocsparseL19gpsv_strided_gatherILj256E21rocsparse_complex_numIfEEEviiiPKT0_PS3_.uses_vcc, 1
	.set _ZN9rocsparseL19gpsv_strided_gatherILj256E21rocsparse_complex_numIfEEEviiiPKT0_PS3_.uses_flat_scratch, 0
	.set _ZN9rocsparseL19gpsv_strided_gatherILj256E21rocsparse_complex_numIfEEEviiiPKT0_PS3_.has_dyn_sized_stack, 0
	.set _ZN9rocsparseL19gpsv_strided_gatherILj256E21rocsparse_complex_numIfEEEviiiPKT0_PS3_.has_recursion, 0
	.set _ZN9rocsparseL19gpsv_strided_gatherILj256E21rocsparse_complex_numIfEEEviiiPKT0_PS3_.has_indirect_call, 0
	.section	.AMDGPU.csdata,"",@progbits
; Kernel info:
; codeLenInByte = 212
; TotalNumSgprs: 9
; NumVgprs: 8
; ScratchSize: 0
; MemoryBound: 0
; FloatMode: 240
; IeeeMode: 1
; LDSByteSize: 0 bytes/workgroup (compile time only)
; SGPRBlocks: 0
; VGPRBlocks: 0
; NumSGPRsForWavesPerEU: 9
; NumVGPRsForWavesPerEU: 8
; Occupancy: 16
; WaveLimiterHint : 0
; COMPUTE_PGM_RSRC2:SCRATCH_EN: 0
; COMPUTE_PGM_RSRC2:USER_SGPR: 2
; COMPUTE_PGM_RSRC2:TRAP_HANDLER: 0
; COMPUTE_PGM_RSRC2:TGID_X_EN: 1
; COMPUTE_PGM_RSRC2:TGID_Y_EN: 0
; COMPUTE_PGM_RSRC2:TGID_Z_EN: 0
; COMPUTE_PGM_RSRC2:TIDIG_COMP_CNT: 0
	.section	.text._ZN9rocsparseL44gpsv_interleaved_batch_householder_qr_kernelILj256E21rocsparse_complex_numIfEEEviiiPT0_S4_S4_S4_S4_S4_S4_S4_S4_,"axG",@progbits,_ZN9rocsparseL44gpsv_interleaved_batch_householder_qr_kernelILj256E21rocsparse_complex_numIfEEEviiiPT0_S4_S4_S4_S4_S4_S4_S4_S4_,comdat
	.globl	_ZN9rocsparseL44gpsv_interleaved_batch_householder_qr_kernelILj256E21rocsparse_complex_numIfEEEviiiPT0_S4_S4_S4_S4_S4_S4_S4_S4_ ; -- Begin function _ZN9rocsparseL44gpsv_interleaved_batch_householder_qr_kernelILj256E21rocsparse_complex_numIfEEEviiiPT0_S4_S4_S4_S4_S4_S4_S4_S4_
	.p2align	8
	.type	_ZN9rocsparseL44gpsv_interleaved_batch_householder_qr_kernelILj256E21rocsparse_complex_numIfEEEviiiPT0_S4_S4_S4_S4_S4_S4_S4_S4_,@function
_ZN9rocsparseL44gpsv_interleaved_batch_householder_qr_kernelILj256E21rocsparse_complex_numIfEEEviiiPT0_S4_S4_S4_S4_S4_S4_S4_S4_: ; @_ZN9rocsparseL44gpsv_interleaved_batch_householder_qr_kernelILj256E21rocsparse_complex_numIfEEEviiiPT0_S4_S4_S4_S4_S4_S4_S4_S4_
; %bb.0:
	s_clause 0x1
	s_load_b32 s2, s[0:1], 0x64
	s_load_b96 s[16:18], s[0:1], 0x0
	s_wait_kmcnt 0x0
	s_and_b32 s2, s2, 0xffff
	s_delay_alu instid0(SALU_CYCLE_1) | instskip(SKIP_2) | instid1(VALU_DEP_1)
	s_mul_i32 s19, ttmp9, s2
	s_mov_b32 s2, exec_lo
	v_add_nc_u32_e32 v1, s19, v0
	v_cmpx_gt_i32_e64 s17, v1
	s_cbranch_execz .LBB7_36
; %bb.1:
	s_clause 0x3
	s_load_b64 s[6:7], s[0:1], 0x50
	s_load_b128 s[8:11], s[0:1], 0x40
	s_load_b128 s[12:15], s[0:1], 0x20
	s_load_b64 s[20:21], s[0:1], 0x30
	s_cmp_lt_i32 s16, 2
	s_cbranch_scc1 .LBB7_23
; %bb.2:
	s_load_b64 s[4:5], s[0:1], 0x18
	s_add_co_i32 s24, s16, -2
	s_mov_b32 s3, 0
	s_cmp_eq_u32 s24, 0
	s_cbranch_scc1 .LBB7_14
; %bb.3:
	s_load_b64 s[22:23], s[0:1], 0x10
	v_dual_mov_b32 v63, v0 :: v_dual_add_nc_u32 v58, s17, v0
	v_lshl_add_u32 v59, s17, 1, v0
	v_lshl_add_u32 v60, s18, 1, v0
	v_dual_mov_b32 v62, v0 :: v_dual_add_nc_u32 v61, s18, v0
	s_mov_b32 s25, 0
	s_branch .LBB7_6
.LBB7_4:                                ;   in Loop: Header=BB7_6 Depth=1
	s_or_b32 exec_lo, exec_lo, s27
	s_delay_alu instid0(VALU_DEP_1) | instskip(NEXT) | instid1(VALU_DEP_1)
	v_dual_add_f32 v35, v34, v49 :: v_dual_add_nc_u32 v66, s19, v63
	v_dual_sub_f32 v34, v49, v34 :: v_dual_mul_f32 v35, 0.5, v35
	s_delay_alu instid0(VALU_DEP_1) | instskip(NEXT) | instid1(VALU_DEP_2)
	v_mul_f32_e32 v34, 0.5, v34
	v_cmp_gt_f32_e32 vcc_lo, 0xf800000, v35
	v_mul_f32_e32 v48, 0x4f800000, v35
	s_wait_alu 0xfffd
	s_delay_alu instid0(VALU_DEP_1) | instskip(NEXT) | instid1(VALU_DEP_1)
	v_cndmask_b32_e32 v35, v35, v48, vcc_lo
	v_sqrt_f32_e32 v48, v35
	s_delay_alu instid0(TRANS32_DEP_1) | instskip(NEXT) | instid1(VALU_DEP_1)
	v_add_nc_u32_e32 v67, -1, v48
	v_fma_f32 v68, -v67, v48, v35
	s_delay_alu instid0(VALU_DEP_1) | instskip(SKIP_2) | instid1(VALU_DEP_2)
	v_cmp_ge_f32_e64 s3, 0, v68
	v_add_nc_u32_e32 v68, 1, v48
	s_wait_alu 0xf1ff
	v_cndmask_b32_e64 v67, v48, v67, s3
	s_delay_alu instid0(VALU_DEP_2) | instskip(NEXT) | instid1(VALU_DEP_1)
	v_fma_f32 v48, -v68, v48, v35
	v_cmp_lt_f32_e64 s3, 0, v48
	s_wait_alu 0xf1ff
	s_delay_alu instid0(VALU_DEP_1) | instskip(NEXT) | instid1(VALU_DEP_1)
	v_cndmask_b32_e64 v48, v67, v68, s3
	v_mul_f32_e32 v67, 0x37800000, v48
	s_delay_alu instid0(VALU_DEP_1) | instskip(SKIP_2) | instid1(VALU_DEP_2)
	v_cndmask_b32_e32 v48, v48, v67, vcc_lo
	v_cmp_class_f32_e64 vcc_lo, v35, 0x260
	s_wait_alu 0xfffd
	v_dual_cndmask_b32 v35, v48, v35 :: v_dual_mul_f32 v48, 0x4f800000, v34
	v_cmp_gt_f32_e32 vcc_lo, 0xf800000, v34
	s_wait_alu 0xfffd
	s_delay_alu instid0(VALU_DEP_2) | instskip(NEXT) | instid1(VALU_DEP_1)
	v_cndmask_b32_e32 v34, v34, v48, vcc_lo
	v_sqrt_f32_e32 v48, v34
	s_delay_alu instid0(TRANS32_DEP_1) | instskip(NEXT) | instid1(VALU_DEP_1)
	v_add_nc_u32_e32 v49, -1, v48
	v_fma_f32 v67, -v49, v48, v34
	s_delay_alu instid0(VALU_DEP_1) | instskip(SKIP_2) | instid1(VALU_DEP_2)
	v_cmp_ge_f32_e64 s3, 0, v67
	v_add_nc_u32_e32 v67, 1, v48
	s_wait_alu 0xf1ff
	v_cndmask_b32_e64 v49, v48, v49, s3
	s_delay_alu instid0(VALU_DEP_2) | instskip(NEXT) | instid1(VALU_DEP_1)
	v_fma_f32 v48, -v67, v48, v34
	v_cmp_lt_f32_e64 s3, 0, v48
	s_wait_alu 0xf1ff
	s_delay_alu instid0(VALU_DEP_1) | instskip(NEXT) | instid1(VALU_DEP_1)
	v_cndmask_b32_e64 v48, v49, v67, s3
	v_mul_f32_e32 v49, 0x37800000, v48
	s_delay_alu instid0(VALU_DEP_1) | instskip(SKIP_2) | instid1(VALU_DEP_2)
	v_cndmask_b32_e32 v48, v48, v49, vcc_lo
	v_cmp_class_f32_e64 vcc_lo, v34, 0x260
	s_wait_alu 0xfffd
	v_cndmask_b32_e32 v34, v48, v34, vcc_lo
	v_cmp_lt_f32_e32 vcc_lo, 0, v56
	s_delay_alu instid0(VALU_DEP_2) | instskip(SKIP_2) | instid1(VALU_DEP_2)
	v_cndmask_b32_e64 v34, v34, -v34, s2
	s_wait_alu 0xfffd
	v_cndmask_b32_e64 v35, -v35, v35, vcc_lo
	v_cndmask_b32_e64 v34, -v34, v34, vcc_lo
	s_delay_alu instid0(VALU_DEP_1) | instskip(NEXT) | instid1(VALU_DEP_1)
	v_dual_add_f32 v67, v56, v35 :: v_dual_add_f32 v68, v57, v34
	v_mul_f32_e32 v34, v68, v68
	s_delay_alu instid0(VALU_DEP_1) | instskip(NEXT) | instid1(VALU_DEP_1)
	v_fmac_f32_e32 v34, v67, v67
	v_div_scale_f32 v35, null, v34, v34, 1.0
	s_delay_alu instid0(VALU_DEP_1) | instskip(NEXT) | instid1(TRANS32_DEP_1)
	v_rcp_f32_e32 v48, v35
	v_fma_f32 v49, -v35, v48, 1.0
	s_delay_alu instid0(VALU_DEP_1) | instskip(SKIP_1) | instid1(VALU_DEP_1)
	v_fmac_f32_e32 v48, v49, v48
	v_div_scale_f32 v49, vcc_lo, 1.0, v34, 1.0
	v_mul_f32_e32 v69, v49, v48
	s_delay_alu instid0(VALU_DEP_1) | instskip(NEXT) | instid1(VALU_DEP_1)
	v_fma_f32 v70, -v35, v69, v49
	v_fmac_f32_e32 v69, v70, v48
	v_mul_f32_e32 v70, v67, v68
	s_delay_alu instid0(VALU_DEP_2) | instskip(NEXT) | instid1(VALU_DEP_2)
	v_fma_f32 v35, -v35, v69, v49
	v_fmac_f32_e32 v70, v68, v67
	s_wait_alu 0xfffd
	s_delay_alu instid0(VALU_DEP_2) | instskip(SKIP_1) | instid1(VALU_DEP_3)
	v_div_fmas_f32 v35, v35, v48, v69
	v_mul_f32_e64 v69, v68, -v50
	v_add_f32_e32 v64, v64, v70
	s_delay_alu instid0(VALU_DEP_3) | instskip(NEXT) | instid1(VALU_DEP_3)
	v_div_fixup_f32 v35, v35, v34, 1.0
	v_dual_mul_f32 v34, v68, v53 :: v_dual_fmac_f32 v69, v51, v67
	s_delay_alu instid0(VALU_DEP_1) | instskip(NEXT) | instid1(VALU_DEP_1)
	v_fmac_f32_e32 v34, v52, v67
	v_mul_f32_e32 v48, v34, v35
	v_mul_f32_e64 v34, v68, -v52
	s_delay_alu instid0(VALU_DEP_1) | instskip(NEXT) | instid1(VALU_DEP_1)
	v_fmac_f32_e32 v34, v53, v67
	v_dual_mul_f32 v49, v34, v35 :: v_dual_mul_f32 v34, v51, v68
	s_delay_alu instid0(VALU_DEP_1) | instskip(NEXT) | instid1(VALU_DEP_1)
	v_fmac_f32_e32 v34, v50, v67
	v_mul_f32_e32 v34, v34, v35
	v_mul_f32_e32 v35, v69, v35
	v_mul_f32_e64 v69, v68, -v68
	s_delay_alu instid0(VALU_DEP_1) | instskip(NEXT) | instid1(VALU_DEP_1)
	v_dual_add_f32 v68, v70, v70 :: v_dual_fmac_f32 v69, v67, v67
	v_dual_mul_f32 v67, 0x80000000, v70 :: v_dual_fmac_f32 v68, 0, v69
	s_delay_alu instid0(VALU_DEP_1) | instskip(SKIP_3) | instid1(VALU_DEP_2)
	v_fmac_f32_e32 v67, 2.0, v69
	v_add_f32_e32 v65, v65, v69
	v_mul_f32_e32 v69, v64, v64
	v_fma_f32 v56, v48, v52, v56
	v_fmac_f32_e32 v69, v65, v65
	s_delay_alu instid0(VALU_DEP_2) | instskip(NEXT) | instid1(VALU_DEP_2)
	v_fma_f32 v56, -v49, v53, v56
	v_div_scale_f32 v70, null, v69, v69, 1.0
	s_delay_alu instid0(VALU_DEP_1) | instskip(NEXT) | instid1(TRANS32_DEP_1)
	v_rcp_f32_e32 v71, v70
	v_fma_f32 v72, -v70, v71, 1.0
	s_delay_alu instid0(VALU_DEP_1) | instskip(SKIP_1) | instid1(VALU_DEP_1)
	v_fmac_f32_e32 v71, v72, v71
	v_div_scale_f32 v72, vcc_lo, 1.0, v69, 1.0
	v_mul_f32_e32 v73, v72, v71
	s_delay_alu instid0(VALU_DEP_1) | instskip(NEXT) | instid1(VALU_DEP_1)
	v_fma_f32 v74, -v70, v73, v72
	v_fmac_f32_e32 v73, v74, v71
	s_delay_alu instid0(VALU_DEP_1) | instskip(SKIP_1) | instid1(VALU_DEP_1)
	v_fma_f32 v70, -v70, v73, v72
	s_wait_alu 0xfffd
	v_div_fmas_f32 v70, v70, v71, v73
	s_delay_alu instid0(VALU_DEP_1) | instskip(SKIP_2) | instid1(VALU_DEP_1)
	v_div_fixup_f32 v69, v70, v69, 1.0
	v_mul_f32_e32 v70, v64, v68
	v_mul_f32_e64 v64, v64, -v67
	v_fmac_f32_e32 v64, v68, v65
	s_delay_alu instid0(VALU_DEP_1) | instskip(SKIP_2) | instid1(VALU_DEP_2)
	v_mul_f32_e32 v81, v64, v69
	v_fma_f32 v64, v48, v48, 1.0
	v_dual_fmac_f32 v57, v49, v52 :: v_dual_fmac_f32 v56, v34, v50
	v_fma_f32 v64, -v49, v49, v64
	s_delay_alu instid0(VALU_DEP_2) | instskip(NEXT) | instid1(VALU_DEP_3)
	v_fmac_f32_e32 v57, v48, v53
	v_fma_f32 v52, -v35, v51, v56
	s_delay_alu instid0(VALU_DEP_1) | instskip(NEXT) | instid1(VALU_DEP_1)
	v_dual_fmac_f32 v64, v34, v34 :: v_dual_mul_f32 v85, v81, v52
	v_fma_f32 v64, -v35, v35, v64
	v_fmac_f32_e32 v70, v67, v65
	v_fma_f32 v65, v49, v48, 0
	s_delay_alu instid0(VALU_DEP_1) | instskip(NEXT) | instid1(VALU_DEP_1)
	v_fmac_f32_e32 v65, v48, v49
	v_fmac_f32_e32 v65, v35, v34
	s_delay_alu instid0(VALU_DEP_1) | instskip(NEXT) | instid1(VALU_DEP_1)
	v_fmac_f32_e32 v65, v34, v35
	v_mul_f32_e32 v67, v65, v65
	s_delay_alu instid0(VALU_DEP_1) | instskip(NEXT) | instid1(VALU_DEP_1)
	v_dual_fmac_f32 v67, v64, v64 :: v_dual_mul_f32 v80, v69, v70
	v_div_scale_f32 v68, null, v67, v67, 1.0
	s_delay_alu instid0(VALU_DEP_1) | instskip(NEXT) | instid1(TRANS32_DEP_1)
	v_rcp_f32_e32 v69, v68
	v_fma_f32 v70, -v68, v69, 1.0
	s_delay_alu instid0(VALU_DEP_1) | instskip(SKIP_2) | instid1(VALU_DEP_2)
	v_fmac_f32_e32 v69, v70, v69
	v_div_scale_f32 v70, vcc_lo, 1.0, v67, 1.0
	v_fmac_f32_e32 v57, v35, v50
	v_mul_f32_e32 v71, v70, v69
	s_delay_alu instid0(VALU_DEP_2) | instskip(NEXT) | instid1(VALU_DEP_2)
	v_fmac_f32_e32 v57, v34, v51
	v_fma_f32 v72, -v68, v71, v70
	s_delay_alu instid0(VALU_DEP_2) | instskip(SKIP_1) | instid1(VALU_DEP_3)
	v_mul_f32_e64 v84, v81, -v57
	v_fmac_f32_e32 v85, v57, v80
	v_fmac_f32_e32 v71, v72, v69
	s_delay_alu instid0(VALU_DEP_3) | instskip(NEXT) | instid1(VALU_DEP_2)
	v_fmac_f32_e32 v84, v52, v80
	v_fma_f32 v68, -v68, v71, v70
	s_wait_alu 0xfffd
	s_delay_alu instid0(VALU_DEP_1) | instskip(SKIP_3) | instid1(VALU_DEP_3)
	v_div_fmas_f32 v68, v68, v69, v71
	v_add_co_u32 v56, vcc_lo, s14, v54
	s_wait_alu 0xfffd
	v_add_co_ci_u32_e64 v57, null, s15, v55, vcc_lo
	v_div_fixup_f32 v67, v68, v67, 1.0
	v_mul_f32_e32 v68, 0, v65
	v_mul_f32_e32 v65, -2.0, v65
	v_add_co_u32 v54, vcc_lo, s20, v54
	s_wait_alu 0xfffd
	v_add_co_ci_u32_e64 v55, null, s21, v55, vcc_lo
	s_delay_alu instid0(VALU_DEP_3) | instskip(NEXT) | instid1(VALU_DEP_1)
	v_fmac_f32_e32 v65, 0, v64
	v_dual_fmac_f32 v68, 2.0, v64 :: v_dual_mul_f32 v83, v65, v67
	global_load_b64 v[64:65], v[56:57], off
	v_mul_f32_e32 v82, v68, v67
	global_load_b64 v[68:69], v[54:55], off
	s_wait_loadcnt 0x1
	v_fma_f32 v53, v49, v42, v65
	v_fma_f32 v50, v48, v42, v64
	s_wait_loadcnt 0x0
	v_fma_f32 v67, v49, v40, v69
	s_delay_alu instid0(VALU_DEP_3) | instskip(NEXT) | instid1(VALU_DEP_3)
	v_fmac_f32_e32 v53, v48, v43
	v_fma_f32 v50, -v49, v43, v50
	s_delay_alu instid0(VALU_DEP_3) | instskip(NEXT) | instid1(VALU_DEP_3)
	v_fmac_f32_e32 v67, v48, v41
	v_fmac_f32_e32 v53, v35, v22
	s_delay_alu instid0(VALU_DEP_2) | instskip(NEXT) | instid1(VALU_DEP_2)
	v_dual_fmac_f32 v50, v34, v22 :: v_dual_fmac_f32 v67, v35, v20
	v_fmac_f32_e32 v53, v34, v23
	s_delay_alu instid0(VALU_DEP_2) | instskip(NEXT) | instid1(VALU_DEP_3)
	v_fma_f32 v50, -v35, v23, v50
	v_fmac_f32_e32 v67, v34, v21
	s_delay_alu instid0(VALU_DEP_3) | instskip(NEXT) | instid1(VALU_DEP_1)
	v_mul_f32_e64 v51, v81, -v53
	v_dual_mul_f32 v52, v81, v50 :: v_dual_fmac_f32 v51, v50, v80
	v_fma_f32 v50, v48, v40, v68
	s_delay_alu instid0(VALU_DEP_2) | instskip(NEXT) | instid1(VALU_DEP_2)
	v_fmac_f32_e32 v52, v53, v80
	v_fma_f32 v50, -v49, v41, v50
	s_delay_alu instid0(VALU_DEP_1) | instskip(NEXT) | instid1(VALU_DEP_1)
	v_fmac_f32_e32 v50, v34, v20
	v_fma_f32 v53, -v35, v21, v50
	v_mul_f32_e64 v50, v81, -v67
	s_delay_alu instid0(VALU_DEP_1) | instskip(SKIP_1) | instid1(VALU_DEP_1)
	v_fmac_f32_e32 v50, v53, v80
	v_mul_f32_e32 v53, v81, v53
	v_fmac_f32_e32 v53, v67, v80
	v_ashrrev_i32_e32 v67, 31, v66
	s_delay_alu instid0(VALU_DEP_1) | instskip(NEXT) | instid1(VALU_DEP_1)
	v_lshlrev_b64_e32 v[66:67], 3, v[66:67]
	v_add_co_u32 v70, vcc_lo, s8, v66
	s_wait_alu 0xfffd
	s_delay_alu instid0(VALU_DEP_2)
	v_add_co_ci_u32_e64 v71, null, s9, v67, vcc_lo
	v_add_co_u32 v46, vcc_lo, s8, v46
	s_wait_alu 0xfffd
	v_add_co_ci_u32_e64 v47, null, s9, v47, vcc_lo
	global_load_b64 v[72:73], v[70:71], off
	v_add_co_u32 v76, vcc_lo, s10, v66
	s_wait_alu 0xfffd
	v_add_co_ci_u32_e64 v77, null, s11, v67, vcc_lo
	v_add_co_u32 v66, vcc_lo, s6, v66
	s_wait_alu 0xfffd
	v_add_co_ci_u32_e64 v67, null, s7, v67, vcc_lo
	global_load_b64 v[78:79], v[76:77], off
	s_wait_loadcnt 0x1
	v_fma_f32 v74, v48, v38, v72
	v_fma_f32 v75, v49, v38, v73
	s_delay_alu instid0(VALU_DEP_2) | instskip(NEXT) | instid1(VALU_DEP_1)
	v_fma_f32 v74, -v49, v39, v74
	v_dual_fmac_f32 v75, v48, v39 :: v_dual_fmac_f32 v74, v34, v14
	s_delay_alu instid0(VALU_DEP_1) | instskip(NEXT) | instid1(VALU_DEP_2)
	v_fmac_f32_e32 v75, v35, v14
	v_fma_f32 v74, -v35, v15, v74
	s_delay_alu instid0(VALU_DEP_2) | instskip(NEXT) | instid1(VALU_DEP_2)
	v_fmac_f32_e32 v75, v34, v15
	v_mul_f32_e32 v87, v81, v74
	s_delay_alu instid0(VALU_DEP_2) | instskip(NEXT) | instid1(VALU_DEP_1)
	v_mul_f32_e64 v86, v81, -v75
	v_fmac_f32_e32 v86, v74, v80
	s_delay_alu instid0(VALU_DEP_3) | instskip(SKIP_4) | instid1(VALU_DEP_2)
	v_fmac_f32_e32 v87, v75, v80
	global_load_b64 v[74:75], v[46:47], off
	s_wait_loadcnt 0x0
	v_fma_f32 v88, v48, v74, v78
	v_fma_f32 v74, v49, v74, v79
	v_fma_f32 v88, -v49, v75, v88
	s_delay_alu instid0(VALU_DEP_2) | instskip(NEXT) | instid1(VALU_DEP_2)
	v_fmac_f32_e32 v74, v48, v75
	v_fmac_f32_e32 v88, v34, v12
	s_delay_alu instid0(VALU_DEP_2) | instskip(NEXT) | instid1(VALU_DEP_2)
	v_fmac_f32_e32 v74, v35, v12
	v_fma_f32 v75, -v35, v13, v88
	s_delay_alu instid0(VALU_DEP_1) | instskip(NEXT) | instid1(VALU_DEP_1)
	v_dual_fmac_f32 v74, v34, v13 :: v_dual_mul_f32 v89, v81, v75
	v_mul_f32_e64 v88, v81, -v74
	s_delay_alu instid0(VALU_DEP_2) | instskip(NEXT) | instid1(VALU_DEP_2)
	v_fmac_f32_e32 v89, v74, v80
	v_fmac_f32_e32 v88, v75, v80
	global_load_b64 v[74:75], v[66:67], off
	s_wait_loadcnt 0x0
	v_fma_f32 v80, v48, v32, v74
	v_fma_f32 v81, v49, v32, v75
	s_delay_alu instid0(VALU_DEP_2) | instskip(NEXT) | instid1(VALU_DEP_1)
	v_fma_f32 v80, -v49, v33, v80
	v_dual_fmac_f32 v81, v48, v33 :: v_dual_fmac_f32 v80, v34, v4
	s_delay_alu instid0(VALU_DEP_1) | instskip(NEXT) | instid1(VALU_DEP_2)
	v_fmac_f32_e32 v81, v35, v4
	v_fma_f32 v80, -v35, v5, v80
	s_delay_alu instid0(VALU_DEP_2) | instskip(NEXT) | instid1(VALU_DEP_1)
	v_fmac_f32_e32 v81, v34, v5
	v_mul_f32_e64 v90, v83, -v81
	s_delay_alu instid0(VALU_DEP_1) | instskip(NEXT) | instid1(VALU_DEP_1)
	v_dual_mul_f32 v83, v83, v80 :: v_dual_fmac_f32 v90, v80, v82
	v_fmac_f32_e32 v83, v81, v82
	global_load_b64 v[80:81], v[44:45], off
	v_fma_f32 v4, -v34, v90, v4
	v_fma_f32 v5, -v35, v90, v5
	s_wait_loadcnt 0x0
	v_dual_sub_f32 v80, v80, v84 :: v_dual_sub_f32 v81, v81, v85
	global_store_b64 v[44:45], v[80:81], off
	v_dual_sub_f32 v44, v64, v51 :: v_dual_sub_f32 v45, v65, v52
	global_store_b64 v[56:57], v[44:45], off
	;; [unrolled: 2-line block ×6, first 2 shown]
	global_store_b64 v[24:25], v[48:49], off
	v_fma_f32 v24, -v51, v48, v42
	v_fma_f32 v25, -v52, v48, v43
	s_delay_alu instid0(VALU_DEP_2) | instskip(NEXT) | instid1(VALU_DEP_2)
	v_fmac_f32_e32 v24, v52, v49
	v_fma_f32 v25, -v51, v49, v25
	global_store_b64 v[26:27], v[24:25], off
	v_fma_f32 v24, -v50, v48, v40
	v_fma_f32 v25, -v53, v48, v41
	s_delay_alu instid0(VALU_DEP_2) | instskip(NEXT) | instid1(VALU_DEP_2)
	v_fmac_f32_e32 v24, v53, v49
	v_fma_f32 v25, -v50, v49, v25
	;; [unrolled: 6-line block ×3, first 2 shown]
	v_fmac_f32_e32 v4, v35, v83
	v_fma_f32 v5, -v34, v83, v5
	global_store_b64 v[36:37], v[24:25], off
	global_load_b64 v[24:25], v[46:47], off
	s_wait_loadcnt 0x0
	v_fma_f32 v24, -v88, v48, v24
	v_fma_f32 v25, -v89, v48, v25
	s_delay_alu instid0(VALU_DEP_2) | instskip(NEXT) | instid1(VALU_DEP_2)
	v_fmac_f32_e32 v24, v89, v49
	v_fma_f32 v25, -v88, v49, v25
	global_store_b64 v[46:47], v[24:25], off
	v_fma_f32 v24, -v48, v90, v32
	v_fma_f32 v25, -v49, v90, v33
	s_delay_alu instid0(VALU_DEP_2) | instskip(NEXT) | instid1(VALU_DEP_2)
	v_fmac_f32_e32 v24, v49, v83
	v_fma_f32 v25, -v48, v83, v25
	global_store_b64 v[28:29], v[24:25], off
	global_store_b64 v[8:9], v[34:35], off
	v_fma_f32 v8, -v51, v34, v22
	v_fma_f32 v9, -v52, v34, v23
	global_store_b64 v[2:3], v[4:5], off
	v_fmac_f32_e32 v8, v52, v35
	v_fma_f32 v9, -v51, v35, v9
	global_store_b64 v[18:19], v[8:9], off
	v_fma_f32 v8, -v50, v34, v20
	v_fma_f32 v9, -v53, v34, v21
	s_delay_alu instid0(VALU_DEP_2) | instskip(NEXT) | instid1(VALU_DEP_2)
	v_fmac_f32_e32 v8, v53, v35
	v_fma_f32 v9, -v50, v35, v9
	global_store_b64 v[16:17], v[8:9], off
	v_fma_f32 v8, -v86, v34, v14
	v_fma_f32 v9, -v87, v34, v15
	s_delay_alu instid0(VALU_DEP_2) | instskip(NEXT) | instid1(VALU_DEP_2)
	;; [unrolled: 6-line block ×3, first 2 shown]
	v_fmac_f32_e32 v8, v89, v35
	v_fma_f32 v9, -v88, v35, v9
	global_store_b64 v[6:7], v[8:9], off
.LBB7_5:                                ;   in Loop: Header=BB7_6 Depth=1
	s_or_b32 exec_lo, exec_lo, s26
	v_add_nc_u32_e32 v58, s17, v58
	v_add_nc_u32_e32 v59, s17, v59
	;; [unrolled: 1-line block ×6, first 2 shown]
	s_add_co_i32 s25, s25, 1
	s_delay_alu instid0(SALU_CYCLE_1)
	s_cmp_eq_u32 s24, s25
	s_cbranch_scc1 .LBB7_13
.LBB7_6:                                ; =>This Inner Loop Header: Depth=1
	s_delay_alu instid0(VALU_DEP_2) | instskip(NEXT) | instid1(VALU_DEP_2)
	v_add_nc_u32_e32 v2, s19, v60
	v_add_nc_u32_e32 v4, s19, v61
	s_delay_alu instid0(VALU_DEP_2) | instskip(NEXT) | instid1(VALU_DEP_2)
	v_ashrrev_i32_e32 v3, 31, v2
	v_ashrrev_i32_e32 v5, 31, v4
	s_delay_alu instid0(VALU_DEP_2) | instskip(NEXT) | instid1(VALU_DEP_2)
	v_lshlrev_b64_e32 v[2:3], 3, v[2:3]
	v_lshlrev_b64_e32 v[4:5], 3, v[4:5]
	s_wait_kmcnt 0x0
	s_delay_alu instid0(VALU_DEP_2) | instskip(SKIP_1) | instid1(VALU_DEP_3)
	v_add_co_u32 v8, vcc_lo, s22, v2
	s_wait_alu 0xfffd
	v_add_co_ci_u32_e64 v9, null, s23, v3, vcc_lo
	s_delay_alu instid0(VALU_DEP_3)
	v_add_co_u32 v24, vcc_lo, s4, v4
	s_wait_alu 0xfffd
	v_add_co_ci_u32_e64 v25, null, s5, v5, vcc_lo
	global_load_b64 v[50:51], v[8:9], off
	global_load_b64 v[52:53], v[24:25], off
	s_wait_loadcnt 0x1
	v_mul_f32_e64 v6, v51, -v51
	v_mul_f32_e32 v64, v50, v51
	s_delay_alu instid0(VALU_DEP_2) | instskip(NEXT) | instid1(VALU_DEP_2)
	v_fmac_f32_e32 v6, v50, v50
	v_fmac_f32_e32 v64, v51, v50
	s_wait_loadcnt 0x0
	s_delay_alu instid0(VALU_DEP_2) | instskip(NEXT) | instid1(VALU_DEP_2)
	v_fmac_f32_e32 v6, v52, v52
	v_fmac_f32_e32 v64, v53, v52
	s_delay_alu instid0(VALU_DEP_2) | instskip(NEXT) | instid1(VALU_DEP_2)
	v_fma_f32 v65, -v53, v53, v6
	v_fmac_f32_e32 v64, v52, v53
	s_delay_alu instid0(VALU_DEP_2) | instskip(NEXT) | instid1(VALU_DEP_2)
	v_cmp_neq_f32_e32 vcc_lo, 0, v65
	v_cmp_neq_f32_e64 s2, 0, v64
	s_or_b32 s2, vcc_lo, s2
	s_wait_alu 0xfffe
	s_and_saveexec_b32 s26, s2
	s_cbranch_execz .LBB7_5
; %bb.7:                                ;   in Loop: Header=BB7_6 Depth=1
	v_add_nc_u32_e32 v6, s19, v58
	v_add_co_u32 v26, vcc_lo, s12, v4
	s_wait_alu 0xfffd
	v_add_co_ci_u32_e64 v27, null, s13, v5, vcc_lo
	s_delay_alu instid0(VALU_DEP_3) | instskip(SKIP_3) | instid1(VALU_DEP_3)
	v_ashrrev_i32_e32 v7, 31, v6
	v_add_co_u32 v30, vcc_lo, s14, v4
	s_wait_alu 0xfffd
	v_add_co_ci_u32_e64 v31, null, s15, v5, vcc_lo
	v_lshlrev_b64_e32 v[46:47], 3, v[6:7]
	v_add_nc_u32_e32 v6, s19, v62
	v_add_co_u32 v36, vcc_lo, s20, v4
	s_wait_alu 0xfffd
	v_add_co_ci_u32_e64 v37, null, s21, v5, vcc_lo
	s_delay_alu instid0(VALU_DEP_3) | instskip(SKIP_3) | instid1(VALU_DEP_3)
	v_ashrrev_i32_e32 v7, 31, v6
	v_add_co_u32 v28, vcc_lo, s6, v46
	s_wait_alu 0xfffd
	v_add_co_ci_u32_e64 v29, null, s7, v47, vcc_lo
	v_lshlrev_b64_e32 v[54:55], 3, v[6:7]
	v_add_nc_u32_e32 v12, s19, v59
	global_load_b64 v[42:43], v[26:27], off
	global_load_b64 v[40:41], v[30:31], off
	;; [unrolled: 1-line block ×4, first 2 shown]
                                        ; implicit-def: $vgpr49
	s_mov_b32 s3, exec_lo
	v_ashrrev_i32_e32 v13, 31, v12
	v_add_co_u32 v44, vcc_lo, s12, v54
	s_wait_alu 0xfffd
	v_add_co_ci_u32_e64 v45, null, s13, v55, vcc_lo
	v_add_co_u32 v18, vcc_lo, s4, v2
	s_wait_alu 0xfffd
	v_add_co_ci_u32_e64 v19, null, s5, v3, vcc_lo
	global_load_b64 v[56:57], v[44:45], off
	v_add_co_u32 v16, vcc_lo, s12, v2
	v_lshlrev_b64_e32 v[4:5], 3, v[12:13]
	s_wait_alu 0xfffd
	v_add_co_ci_u32_e64 v17, null, s13, v3, vcc_lo
	v_add_co_u32 v10, vcc_lo, s14, v2
	s_wait_alu 0xfffd
	v_add_co_ci_u32_e64 v11, null, s15, v3, vcc_lo
	v_add_co_u32 v6, vcc_lo, s20, v2
	;; [unrolled: 3-line block ×3, first 2 shown]
	s_wait_alu 0xfffd
	v_add_co_ci_u32_e64 v3, null, s7, v5, vcc_lo
	global_load_b64 v[22:23], v[18:19], off
	global_load_b64 v[20:21], v[16:17], off
	;; [unrolled: 1-line block ×5, first 2 shown]
	s_wait_loadcnt 0x5
	v_fma_f32 v34, v56, v56, v65
	v_fma_f32 v66, v57, v56, v64
	s_delay_alu instid0(VALU_DEP_2) | instskip(NEXT) | instid1(VALU_DEP_2)
	v_fma_f32 v34, -v57, v57, v34
	v_fmac_f32_e32 v66, v56, v57
	s_delay_alu instid0(VALU_DEP_2) | instskip(NEXT) | instid1(VALU_DEP_2)
	v_cmp_gt_f32_e32 vcc_lo, 0, v34
	v_cmp_gt_f32_e64 s2, 0, v66
	s_wait_alu 0xfffd
	v_cndmask_b32_e64 v35, v34, -v34, vcc_lo
	s_wait_alu 0xf1ff
	s_delay_alu instid0(VALU_DEP_2) | instskip(NEXT) | instid1(VALU_DEP_1)
	v_cndmask_b32_e64 v48, v66, -v66, s2
	v_cmpx_ngt_f32_e32 v35, v48
	s_wait_alu 0xfffe
	s_xor_b32 s27, exec_lo, s3
	s_cbranch_execz .LBB7_11
; %bb.8:                                ;   in Loop: Header=BB7_6 Depth=1
	v_mov_b32_e32 v49, 0
	s_mov_b32 s28, exec_lo
	v_cmpx_neq_f32_e32 0, v66
	s_cbranch_execz .LBB7_10
; %bb.9:                                ;   in Loop: Header=BB7_6 Depth=1
	v_div_scale_f32 v49, null, v48, v48, v35
	v_div_scale_f32 v68, vcc_lo, v35, v48, v35
	s_delay_alu instid0(VALU_DEP_2) | instskip(NEXT) | instid1(TRANS32_DEP_1)
	v_rcp_f32_e32 v66, v49
	v_fma_f32 v67, -v49, v66, 1.0
	s_delay_alu instid0(VALU_DEP_1) | instskip(NEXT) | instid1(VALU_DEP_1)
	v_fmac_f32_e32 v66, v67, v66
	v_mul_f32_e32 v67, v68, v66
	s_delay_alu instid0(VALU_DEP_1) | instskip(NEXT) | instid1(VALU_DEP_1)
	v_fma_f32 v69, -v49, v67, v68
	v_fmac_f32_e32 v67, v69, v66
	s_delay_alu instid0(VALU_DEP_1) | instskip(SKIP_1) | instid1(VALU_DEP_1)
	v_fma_f32 v49, -v49, v67, v68
	s_wait_alu 0xfffd
	v_div_fmas_f32 v49, v49, v66, v67
	s_delay_alu instid0(VALU_DEP_1) | instskip(NEXT) | instid1(VALU_DEP_1)
	v_div_fixup_f32 v35, v49, v48, v35
	v_fma_f32 v35, v35, v35, 1.0
	s_delay_alu instid0(VALU_DEP_1) | instskip(SKIP_2) | instid1(VALU_DEP_2)
	v_mul_f32_e32 v49, 0x4f800000, v35
	v_cmp_gt_f32_e32 vcc_lo, 0xf800000, v35
	s_wait_alu 0xfffd
	v_cndmask_b32_e32 v35, v35, v49, vcc_lo
	s_delay_alu instid0(VALU_DEP_1) | instskip(NEXT) | instid1(TRANS32_DEP_1)
	v_sqrt_f32_e32 v49, v35
	v_add_nc_u32_e32 v66, -1, v49
	v_add_nc_u32_e32 v67, 1, v49
	s_delay_alu instid0(VALU_DEP_2) | instskip(NEXT) | instid1(VALU_DEP_2)
	v_fma_f32 v68, -v66, v49, v35
	v_fma_f32 v69, -v67, v49, v35
	s_delay_alu instid0(VALU_DEP_2) | instskip(SKIP_1) | instid1(VALU_DEP_1)
	v_cmp_ge_f32_e64 s3, 0, v68
	s_wait_alu 0xf1ff
	v_cndmask_b32_e64 v49, v49, v66, s3
	s_delay_alu instid0(VALU_DEP_3) | instskip(SKIP_1) | instid1(VALU_DEP_1)
	v_cmp_lt_f32_e64 s3, 0, v69
	s_wait_alu 0xf1ff
	v_cndmask_b32_e64 v49, v49, v67, s3
	s_delay_alu instid0(VALU_DEP_1) | instskip(NEXT) | instid1(VALU_DEP_1)
	v_mul_f32_e32 v66, 0x37800000, v49
	v_cndmask_b32_e32 v49, v49, v66, vcc_lo
	v_cmp_class_f32_e64 vcc_lo, v35, 0x260
	s_wait_alu 0xfffd
	s_delay_alu instid0(VALU_DEP_2) | instskip(NEXT) | instid1(VALU_DEP_1)
	v_cndmask_b32_e32 v35, v49, v35, vcc_lo
	v_mul_f32_e32 v49, v48, v35
.LBB7_10:                               ;   in Loop: Header=BB7_6 Depth=1
	s_or_b32 exec_lo, exec_lo, s28
                                        ; implicit-def: $vgpr35
                                        ; implicit-def: $vgpr48
.LBB7_11:                               ;   in Loop: Header=BB7_6 Depth=1
	s_and_not1_saveexec_b32 s27, s27
	s_cbranch_execz .LBB7_4
; %bb.12:                               ;   in Loop: Header=BB7_6 Depth=1
	v_div_scale_f32 v49, null, v35, v35, v48
	v_div_scale_f32 v68, vcc_lo, v48, v35, v48
	s_delay_alu instid0(VALU_DEP_2) | instskip(NEXT) | instid1(TRANS32_DEP_1)
	v_rcp_f32_e32 v66, v49
	v_fma_f32 v67, -v49, v66, 1.0
	s_delay_alu instid0(VALU_DEP_1) | instskip(NEXT) | instid1(VALU_DEP_1)
	v_fmac_f32_e32 v66, v67, v66
	v_mul_f32_e32 v67, v68, v66
	s_delay_alu instid0(VALU_DEP_1) | instskip(NEXT) | instid1(VALU_DEP_1)
	v_fma_f32 v69, -v49, v67, v68
	v_fmac_f32_e32 v67, v69, v66
	s_delay_alu instid0(VALU_DEP_1) | instskip(SKIP_1) | instid1(VALU_DEP_1)
	v_fma_f32 v49, -v49, v67, v68
	s_wait_alu 0xfffd
	v_div_fmas_f32 v49, v49, v66, v67
	s_delay_alu instid0(VALU_DEP_1) | instskip(NEXT) | instid1(VALU_DEP_1)
	v_div_fixup_f32 v48, v49, v35, v48
	v_fma_f32 v48, v48, v48, 1.0
	s_delay_alu instid0(VALU_DEP_1) | instskip(SKIP_2) | instid1(VALU_DEP_2)
	v_mul_f32_e32 v49, 0x4f800000, v48
	v_cmp_gt_f32_e32 vcc_lo, 0xf800000, v48
	s_wait_alu 0xfffd
	v_cndmask_b32_e32 v48, v48, v49, vcc_lo
	s_delay_alu instid0(VALU_DEP_1) | instskip(NEXT) | instid1(TRANS32_DEP_1)
	v_sqrt_f32_e32 v49, v48
	v_add_nc_u32_e32 v66, -1, v49
	v_add_nc_u32_e32 v67, 1, v49
	s_delay_alu instid0(VALU_DEP_2) | instskip(NEXT) | instid1(VALU_DEP_2)
	v_fma_f32 v68, -v66, v49, v48
	v_fma_f32 v69, -v67, v49, v48
	s_delay_alu instid0(VALU_DEP_2) | instskip(SKIP_1) | instid1(VALU_DEP_1)
	v_cmp_ge_f32_e64 s3, 0, v68
	s_wait_alu 0xf1ff
	v_cndmask_b32_e64 v49, v49, v66, s3
	s_delay_alu instid0(VALU_DEP_3) | instskip(SKIP_1) | instid1(VALU_DEP_1)
	v_cmp_lt_f32_e64 s3, 0, v69
	s_wait_alu 0xf1ff
	v_cndmask_b32_e64 v49, v49, v67, s3
	s_delay_alu instid0(VALU_DEP_1) | instskip(NEXT) | instid1(VALU_DEP_1)
	v_mul_f32_e32 v66, 0x37800000, v49
	v_cndmask_b32_e32 v49, v49, v66, vcc_lo
	v_cmp_class_f32_e64 vcc_lo, v48, 0x260
	s_wait_alu 0xfffd
	s_delay_alu instid0(VALU_DEP_2) | instskip(NEXT) | instid1(VALU_DEP_1)
	v_cndmask_b32_e32 v48, v49, v48, vcc_lo
	v_mul_f32_e32 v49, v35, v48
	s_branch .LBB7_4
.LBB7_13:
	s_mov_b32 s3, s24
.LBB7_14:
	s_wait_alu 0xfffe
	v_mad_co_u64_u32 v[5:6], null, s3, s18, v[1:2]
	s_delay_alu instid0(VALU_DEP_1) | instskip(NEXT) | instid1(VALU_DEP_1)
	v_add_nc_u32_e32 v2, s18, v5
	v_ashrrev_i32_e32 v3, 31, v2
	s_delay_alu instid0(VALU_DEP_1) | instskip(SKIP_1) | instid1(VALU_DEP_1)
	v_lshlrev_b64_e32 v[3:4], 3, v[2:3]
	s_wait_kmcnt 0x0
	v_add_co_u32 v13, vcc_lo, s4, v3
	s_wait_alu 0xfffd
	s_delay_alu instid0(VALU_DEP_2) | instskip(SKIP_4) | instid1(VALU_DEP_2)
	v_add_co_ci_u32_e64 v14, null, s5, v4, vcc_lo
	global_load_b64 v[19:20], v[13:14], off
	s_wait_loadcnt 0x0
	v_fma_f32 v2, v19, v19, 0
	v_fma_f32 v32, v20, v19, 0
	v_fma_f32 v31, -v20, v20, v2
	s_delay_alu instid0(VALU_DEP_2) | instskip(NEXT) | instid1(VALU_DEP_2)
	v_fmac_f32_e32 v32, v19, v20
	v_cmp_neq_f32_e32 vcc_lo, 0, v31
	s_delay_alu instid0(VALU_DEP_2)
	v_cmp_neq_f32_e64 s2, 0, v32
	s_or_b32 s2, vcc_lo, s2
	s_wait_alu 0xfffe
	s_and_saveexec_b32 s5, s2
	s_cbranch_execz .LBB7_22
; %bb.15:
	v_ashrrev_i32_e32 v6, 31, v5
	v_mad_co_u64_u32 v[29:30], null, s3, s17, v[1:2]
                                        ; implicit-def: $vgpr34
	s_mov_b32 s3, exec_lo
	v_lshlrev_b64_e32 v[27:28], 3, v[5:6]
	s_delay_alu instid0(VALU_DEP_1) | instskip(SKIP_1) | instid1(VALU_DEP_2)
	v_add_co_u32 v21, vcc_lo, s12, v27
	s_wait_alu 0xfffd
	v_add_co_ci_u32_e64 v22, null, s13, v28, vcc_lo
	v_add_co_u32 v7, vcc_lo, s12, v3
	s_wait_alu 0xfffd
	v_add_co_ci_u32_e64 v8, null, s13, v4, vcc_lo
	global_load_b64 v[23:24], v[21:22], off
	v_add_co_u32 v9, vcc_lo, s14, v3
	s_wait_alu 0xfffd
	v_add_co_ci_u32_e64 v10, null, s15, v4, vcc_lo
	v_add_co_u32 v3, vcc_lo, s20, v3
	s_wait_alu 0xfffd
	v_add_co_ci_u32_e64 v4, null, s21, v4, vcc_lo
	s_wait_loadcnt 0x0
	v_fma_f32 v36, v24, v23, v32
	v_add_nc_u32_e32 v1, s17, v29
	v_fma_f32 v30, v23, v23, v31
	s_delay_alu instid0(VALU_DEP_3) | instskip(NEXT) | instid1(VALU_DEP_3)
	v_fmac_f32_e32 v36, v23, v24
	v_ashrrev_i32_e32 v2, 31, v1
	s_delay_alu instid0(VALU_DEP_3) | instskip(NEXT) | instid1(VALU_DEP_3)
	v_fma_f32 v33, -v24, v24, v30
	v_cmp_gt_f32_e64 s2, 0, v36
	s_delay_alu instid0(VALU_DEP_3) | instskip(SKIP_1) | instid1(VALU_DEP_2)
	v_lshlrev_b64_e32 v[25:26], 3, v[1:2]
	s_wait_alu 0xf1ff
	v_cndmask_b32_e64 v35, v36, -v36, s2
	s_delay_alu instid0(VALU_DEP_2) | instskip(SKIP_1) | instid1(VALU_DEP_3)
	v_add_co_u32 v1, vcc_lo, s6, v25
	s_wait_alu 0xfffd
	v_add_co_ci_u32_e64 v2, null, s7, v26, vcc_lo
	global_load_b64 v[17:18], v[7:8], off
	global_load_b64 v[15:16], v[9:10], off
	;; [unrolled: 1-line block ×4, first 2 shown]
	v_cmp_gt_f32_e32 vcc_lo, 0, v33
	s_wait_alu 0xfffd
	v_cndmask_b32_e64 v30, v33, -v33, vcc_lo
	s_delay_alu instid0(VALU_DEP_1)
	v_cmpx_ngt_f32_e32 v30, v35
	s_wait_alu 0xfffe
	s_xor_b32 s4, exec_lo, s3
	s_cbranch_execz .LBB7_19
; %bb.16:
	v_mov_b32_e32 v34, 0
	s_mov_b32 s22, exec_lo
	v_cmpx_neq_f32_e32 0, v36
	s_cbranch_execz .LBB7_18
; %bb.17:
	v_div_scale_f32 v34, null, v35, v35, v30
	v_div_scale_f32 v38, vcc_lo, v30, v35, v30
	s_delay_alu instid0(VALU_DEP_2) | instskip(NEXT) | instid1(TRANS32_DEP_1)
	v_rcp_f32_e32 v36, v34
	v_fma_f32 v37, -v34, v36, 1.0
	s_delay_alu instid0(VALU_DEP_1) | instskip(NEXT) | instid1(VALU_DEP_1)
	v_fmac_f32_e32 v36, v37, v36
	v_mul_f32_e32 v37, v38, v36
	s_delay_alu instid0(VALU_DEP_1) | instskip(NEXT) | instid1(VALU_DEP_1)
	v_fma_f32 v39, -v34, v37, v38
	v_fmac_f32_e32 v37, v39, v36
	s_delay_alu instid0(VALU_DEP_1) | instskip(SKIP_1) | instid1(VALU_DEP_1)
	v_fma_f32 v34, -v34, v37, v38
	s_wait_alu 0xfffd
	v_div_fmas_f32 v34, v34, v36, v37
	s_delay_alu instid0(VALU_DEP_1) | instskip(NEXT) | instid1(VALU_DEP_1)
	v_div_fixup_f32 v30, v34, v35, v30
	v_fma_f32 v30, v30, v30, 1.0
	s_delay_alu instid0(VALU_DEP_1) | instskip(SKIP_2) | instid1(VALU_DEP_2)
	v_mul_f32_e32 v34, 0x4f800000, v30
	v_cmp_gt_f32_e32 vcc_lo, 0xf800000, v30
	s_wait_alu 0xfffd
	v_cndmask_b32_e32 v30, v30, v34, vcc_lo
	s_delay_alu instid0(VALU_DEP_1) | instskip(NEXT) | instid1(TRANS32_DEP_1)
	v_sqrt_f32_e32 v34, v30
	v_add_nc_u32_e32 v36, -1, v34
	v_add_nc_u32_e32 v37, 1, v34
	s_delay_alu instid0(VALU_DEP_2) | instskip(NEXT) | instid1(VALU_DEP_2)
	v_fma_f32 v38, -v36, v34, v30
	v_fma_f32 v39, -v37, v34, v30
	s_delay_alu instid0(VALU_DEP_2) | instskip(SKIP_1) | instid1(VALU_DEP_1)
	v_cmp_ge_f32_e64 s3, 0, v38
	s_wait_alu 0xf1ff
	v_cndmask_b32_e64 v34, v34, v36, s3
	s_delay_alu instid0(VALU_DEP_3) | instskip(SKIP_1) | instid1(VALU_DEP_1)
	v_cmp_lt_f32_e64 s3, 0, v39
	s_wait_alu 0xf1ff
	v_cndmask_b32_e64 v34, v34, v37, s3
	s_delay_alu instid0(VALU_DEP_1) | instskip(NEXT) | instid1(VALU_DEP_1)
	v_mul_f32_e32 v36, 0x37800000, v34
	v_cndmask_b32_e32 v34, v34, v36, vcc_lo
	v_cmp_class_f32_e64 vcc_lo, v30, 0x260
	s_wait_alu 0xfffd
	s_delay_alu instid0(VALU_DEP_2) | instskip(NEXT) | instid1(VALU_DEP_1)
	v_cndmask_b32_e32 v30, v34, v30, vcc_lo
	v_mul_f32_e32 v34, v35, v30
.LBB7_18:
	s_wait_alu 0xfffe
	s_or_b32 exec_lo, exec_lo, s22
                                        ; implicit-def: $vgpr30
                                        ; implicit-def: $vgpr35
.LBB7_19:
	s_wait_alu 0xfffe
	s_and_not1_saveexec_b32 s4, s4
	s_cbranch_execz .LBB7_21
; %bb.20:
	v_div_scale_f32 v34, null, v30, v30, v35
	v_div_scale_f32 v38, vcc_lo, v35, v30, v35
	s_delay_alu instid0(VALU_DEP_2) | instskip(NEXT) | instid1(TRANS32_DEP_1)
	v_rcp_f32_e32 v36, v34
	v_fma_f32 v37, -v34, v36, 1.0
	s_delay_alu instid0(VALU_DEP_1) | instskip(NEXT) | instid1(VALU_DEP_1)
	v_fmac_f32_e32 v36, v37, v36
	v_mul_f32_e32 v37, v38, v36
	s_delay_alu instid0(VALU_DEP_1) | instskip(NEXT) | instid1(VALU_DEP_1)
	v_fma_f32 v39, -v34, v37, v38
	v_fmac_f32_e32 v37, v39, v36
	s_delay_alu instid0(VALU_DEP_1) | instskip(SKIP_1) | instid1(VALU_DEP_1)
	v_fma_f32 v34, -v34, v37, v38
	s_wait_alu 0xfffd
	v_div_fmas_f32 v34, v34, v36, v37
	s_delay_alu instid0(VALU_DEP_1) | instskip(NEXT) | instid1(VALU_DEP_1)
	v_div_fixup_f32 v34, v34, v30, v35
	v_fma_f32 v34, v34, v34, 1.0
	s_delay_alu instid0(VALU_DEP_1) | instskip(SKIP_2) | instid1(VALU_DEP_2)
	v_mul_f32_e32 v35, 0x4f800000, v34
	v_cmp_gt_f32_e32 vcc_lo, 0xf800000, v34
	s_wait_alu 0xfffd
	v_cndmask_b32_e32 v34, v34, v35, vcc_lo
	s_delay_alu instid0(VALU_DEP_1) | instskip(NEXT) | instid1(TRANS32_DEP_1)
	v_sqrt_f32_e32 v35, v34
	v_add_nc_u32_e32 v36, -1, v35
	v_add_nc_u32_e32 v37, 1, v35
	s_delay_alu instid0(VALU_DEP_2) | instskip(NEXT) | instid1(VALU_DEP_2)
	v_fma_f32 v38, -v36, v35, v34
	v_fma_f32 v39, -v37, v35, v34
	s_delay_alu instid0(VALU_DEP_2) | instskip(SKIP_1) | instid1(VALU_DEP_1)
	v_cmp_ge_f32_e64 s3, 0, v38
	s_wait_alu 0xf1ff
	v_cndmask_b32_e64 v35, v35, v36, s3
	s_delay_alu instid0(VALU_DEP_3) | instskip(SKIP_1) | instid1(VALU_DEP_1)
	v_cmp_lt_f32_e64 s3, 0, v39
	s_wait_alu 0xf1ff
	v_cndmask_b32_e64 v35, v35, v37, s3
	s_delay_alu instid0(VALU_DEP_1) | instskip(NEXT) | instid1(VALU_DEP_1)
	v_mul_f32_e32 v36, 0x37800000, v35
	v_cndmask_b32_e32 v35, v35, v36, vcc_lo
	v_cmp_class_f32_e64 vcc_lo, v34, 0x260
	s_wait_alu 0xfffd
	s_delay_alu instid0(VALU_DEP_2) | instskip(NEXT) | instid1(VALU_DEP_1)
	v_cndmask_b32_e32 v34, v35, v34, vcc_lo
	v_mul_f32_e32 v34, v30, v34
.LBB7_21:
	s_wait_alu 0xfffe
	s_or_b32 exec_lo, exec_lo, s4
	v_ashrrev_i32_e32 v30, 31, v29
	s_delay_alu instid0(VALU_DEP_2) | instskip(SKIP_1) | instid1(VALU_DEP_3)
	v_sub_f32_e32 v39, v34, v33
	v_add_f32_e32 v33, v33, v34
	v_lshlrev_b64_e32 v[29:30], 3, v[29:30]
	s_delay_alu instid0(VALU_DEP_2) | instskip(NEXT) | instid1(VALU_DEP_2)
	v_mul_f32_e32 v33, 0.5, v33
	v_add_co_u32 v35, vcc_lo, s8, v29
	s_wait_alu 0xfffd
	s_delay_alu instid0(VALU_DEP_3) | instskip(NEXT) | instid1(VALU_DEP_3)
	v_add_co_ci_u32_e64 v36, null, s9, v30, vcc_lo
	v_mul_f32_e32 v40, 0x4f800000, v33
	v_cmp_gt_f32_e64 s3, 0xf800000, v33
	global_load_b64 v[37:38], v[35:36], off
	s_wait_alu 0xf1ff
	v_cndmask_b32_e64 v33, v33, v40, s3
	s_delay_alu instid0(VALU_DEP_1) | instskip(NEXT) | instid1(TRANS32_DEP_1)
	v_sqrt_f32_e32 v40, v33
	v_add_nc_u32_e32 v42, -1, v40
	v_mul_f32_e32 v34, 0.5, v39
	s_delay_alu instid0(VALU_DEP_2) | instskip(NEXT) | instid1(VALU_DEP_2)
	v_fma_f32 v46, -v42, v40, v33
	v_mul_f32_e32 v39, 0x4f800000, v34
	v_cmp_gt_f32_e32 vcc_lo, 0xf800000, v34
	s_wait_alu 0xfffd
	s_delay_alu instid0(VALU_DEP_2) | instskip(NEXT) | instid1(VALU_DEP_1)
	v_dual_cndmask_b32 v34, v34, v39 :: v_dual_add_nc_u32 v45, 1, v40
	v_sqrt_f32_e32 v39, v34
	s_delay_alu instid0(TRANS32_DEP_1) | instskip(SKIP_1) | instid1(VALU_DEP_2)
	v_add_nc_u32_e32 v41, -1, v39
	v_add_nc_u32_e32 v43, 1, v39
	v_fma_f32 v44, -v41, v39, v34
	s_delay_alu instid0(VALU_DEP_2) | instskip(NEXT) | instid1(VALU_DEP_2)
	v_fma_f32 v47, -v43, v39, v34
	v_cmp_ge_f32_e64 s4, 0, v44
	s_wait_alu 0xf1ff
	s_delay_alu instid0(VALU_DEP_1) | instskip(SKIP_3) | instid1(VALU_DEP_2)
	v_cndmask_b32_e64 v39, v39, v41, s4
	v_cmp_ge_f32_e64 s4, 0, v46
	v_fma_f32 v41, -v45, v40, v33
	s_wait_alu 0xf1ff
	v_cndmask_b32_e64 v40, v40, v42, s4
	v_cmp_lt_f32_e64 s4, 0, v47
	s_wait_alu 0xf1ff
	s_delay_alu instid0(VALU_DEP_1) | instskip(SKIP_1) | instid1(VALU_DEP_2)
	v_cndmask_b32_e64 v39, v39, v43, s4
	v_cmp_lt_f32_e64 s4, 0, v41
	v_mul_f32_e32 v41, 0x37800000, v39
	s_delay_alu instid0(VALU_DEP_1) | instskip(SKIP_2) | instid1(VALU_DEP_2)
	v_cndmask_b32_e32 v39, v39, v41, vcc_lo
	v_cmp_class_f32_e64 vcc_lo, v34, 0x260
	s_wait_alu 0xfffd
	v_cndmask_b32_e32 v34, v39, v34, vcc_lo
	s_wait_alu 0xf1ff
	v_cndmask_b32_e64 v40, v40, v45, s4
	v_cmp_class_f32_e64 vcc_lo, v33, 0x260
	s_delay_alu instid0(VALU_DEP_3) | instskip(NEXT) | instid1(VALU_DEP_3)
	v_cndmask_b32_e64 v34, v34, -v34, s2
	v_mul_f32_e32 v42, 0x37800000, v40
	s_delay_alu instid0(VALU_DEP_1) | instskip(SKIP_1) | instid1(VALU_DEP_1)
	v_cndmask_b32_e64 v40, v40, v42, s3
	s_wait_alu 0xfffd
	v_cndmask_b32_e32 v33, v40, v33, vcc_lo
	v_cmp_lt_f32_e32 vcc_lo, 0, v23
	s_wait_alu 0xfffd
	s_delay_alu instid0(VALU_DEP_2) | instskip(SKIP_1) | instid1(VALU_DEP_1)
	v_cndmask_b32_e64 v33, -v33, v33, vcc_lo
	v_cndmask_b32_e64 v34, -v34, v34, vcc_lo
	v_dual_add_f32 v52, v23, v33 :: v_dual_add_f32 v51, v24, v34
	v_add_co_u32 v33, vcc_lo, s14, v27
	s_wait_alu 0xfffd
	v_add_co_ci_u32_e64 v34, null, s15, v28, vcc_lo
	s_delay_alu instid0(VALU_DEP_3) | instskip(SKIP_3) | instid1(VALU_DEP_3)
	v_mul_f32_e32 v54, v52, v51
	v_add_co_u32 v27, vcc_lo, s20, v27
	s_wait_alu 0xfffd
	v_add_co_ci_u32_e64 v28, null, s21, v28, vcc_lo
	v_fmac_f32_e32 v54, v51, v52
	v_add_co_u32 v25, vcc_lo, s8, v25
	s_wait_alu 0xfffd
	v_add_co_ci_u32_e64 v26, null, s9, v26, vcc_lo
	s_delay_alu instid0(VALU_DEP_3)
	v_add_f32_e32 v57, v32, v54
	global_load_b64 v[39:40], v[21:22], off
	global_load_b64 v[41:42], v[33:34], off
	v_dual_mul_f32 v60, v57, v57 :: v_dual_mul_f32 v53, v51, v51
	v_mul_f32_e64 v55, v51, -v51
	v_dual_mul_f32 v68, 0, v51 :: v_dual_mul_f32 v65, v51, v20
	v_mul_f32_e64 v67, v51, -v19
	s_delay_alu instid0(VALU_DEP_4) | instskip(NEXT) | instid1(VALU_DEP_4)
	v_fmac_f32_e32 v53, v52, v52
	v_dual_fmac_f32 v55, v52, v52 :: v_dual_mul_f32 v70, 0x80000000, v51
	s_delay_alu instid0(VALU_DEP_4) | instskip(NEXT) | instid1(VALU_DEP_3)
	v_fmac_f32_e32 v68, 0, v52
	v_div_scale_f32 v56, null, v53, v53, 1.0
	s_delay_alu instid0(VALU_DEP_3) | instskip(NEXT) | instid1(VALU_DEP_2)
	v_fmac_f32_e32 v70, 0, v52
	v_rcp_f32_e32 v58, v56
	s_delay_alu instid0(TRANS32_DEP_1) | instskip(NEXT) | instid1(VALU_DEP_1)
	v_fma_f32 v43, -v56, v58, 1.0
	v_fmac_f32_e32 v58, v43, v58
	v_add_f32_e32 v59, v31, v55
	v_add_co_u32 v31, vcc_lo, s10, v29
	s_wait_alu 0xfffd
	v_add_co_ci_u32_e64 v32, null, s11, v30, vcc_lo
	v_div_scale_f32 v61, vcc_lo, 1.0, v53, 1.0
	v_add_co_u32 v29, s2, s6, v29
	s_wait_alu 0xf1ff
	v_add_co_ci_u32_e64 v30, null, s7, v30, s2
	s_delay_alu instid0(VALU_DEP_3)
	v_mul_f32_e32 v64, v61, v58
	global_load_b64 v[43:44], v[27:28], off
	global_load_b64 v[45:46], v[25:26], off
	;; [unrolled: 1-line block ×4, first 2 shown]
	v_fma_f32 v66, -v56, v64, v61
	s_delay_alu instid0(VALU_DEP_1) | instskip(SKIP_1) | instid1(VALU_DEP_2)
	v_fmac_f32_e32 v64, v66, v58
	v_fmac_f32_e32 v60, v59, v59
	v_fma_f32 v51, -v56, v64, v61
	s_delay_alu instid0(VALU_DEP_2) | instskip(SKIP_2) | instid1(VALU_DEP_3)
	v_div_scale_f32 v62, null, v60, v60, 1.0
	v_div_scale_f32 v66, s2, 1.0, v60, 1.0
	s_wait_alu 0xfffd
	v_div_fmas_f32 v51, v51, v58, v64
	s_delay_alu instid0(VALU_DEP_3) | instskip(SKIP_2) | instid1(VALU_DEP_3)
	v_rcp_f32_e32 v63, v62
	v_dual_mul_f32 v56, 0x80000000, v54 :: v_dual_fmac_f32 v67, v20, v52
	v_dual_fmac_f32 v65, v19, v52 :: v_dual_add_f32 v54, v54, v54
	v_div_fixup_f32 v53, v51, v53, 1.0
	s_delay_alu instid0(VALU_DEP_3) | instskip(SKIP_1) | instid1(VALU_DEP_2)
	v_fmac_f32_e32 v56, 2.0, v55
	s_mov_b32 vcc_lo, s2
	v_dual_fmac_f32 v54, 0, v55 :: v_dual_mul_f32 v51, v65, v53
	s_delay_alu instid0(TRANS32_DEP_1) | instskip(SKIP_2) | instid1(VALU_DEP_4)
	v_fma_f32 v69, -v62, v63, 1.0
	v_mul_f32_e32 v52, v67, v53
	v_mul_f32_e64 v55, v57, -v56
	v_mul_f32_e32 v57, v57, v54
	v_fma_f32 v23, v51, v19, v23
	v_fmac_f32_e32 v63, v69, v63
	global_store_b64 v[13:14], v[51:52], off
	v_fmac_f32_e32 v24, v52, v19
	v_fmac_f32_e32 v57, v56, v59
	v_fma_f32 v19, -v52, v20, v23
	s_delay_alu instid0(VALU_DEP_3) | instskip(NEXT) | instid1(VALU_DEP_1)
	v_dual_mul_f32 v61, v66, v63 :: v_dual_fmac_f32 v24, v51, v20
	v_fma_f32 v58, -v62, v61, v66
	s_delay_alu instid0(VALU_DEP_1) | instskip(NEXT) | instid1(VALU_DEP_1)
	v_dual_fmac_f32 v61, v58, v63 :: v_dual_mul_f32 v58, v68, v53
	v_fma_f32 v62, -v62, v61, v66
	s_wait_alu 0xfffe
	s_delay_alu instid0(VALU_DEP_1) | instskip(SKIP_4) | instid1(VALU_DEP_3)
	v_div_fmas_f32 v61, v62, v63, v61
	s_wait_loadcnt 0x6
	v_fma_f32 v64, v52, v11, v38
	v_mul_f32_e32 v53, v70, v53
	v_fma_f32 v65, v51, v11, v37
	v_dual_fmac_f32 v64, v51, v12 :: v_dual_fmac_f32 v55, v54, v59
	s_delay_alu instid0(VALU_DEP_2) | instskip(SKIP_1) | instid1(VALU_DEP_3)
	v_fma_f32 v62, -v52, v12, v65
	v_div_fixup_f32 v54, v61, v60, 1.0
	v_fmac_f32_e32 v64, 0, v53
	s_delay_alu instid0(VALU_DEP_3) | instskip(NEXT) | instid1(VALU_DEP_3)
	v_fmac_f32_e32 v62, 0, v58
	v_mul_f32_e32 v55, v55, v54
	s_delay_alu instid0(VALU_DEP_3) | instskip(NEXT) | instid1(VALU_DEP_3)
	v_fmac_f32_e32 v64, 0, v58
	v_fmac_f32_e32 v62, 0x80000000, v53
	v_mul_f32_e32 v54, v54, v57
	v_fmac_f32_e32 v24, 0, v53
	s_delay_alu instid0(VALU_DEP_4) | instskip(NEXT) | instid1(VALU_DEP_4)
	v_mul_f32_e64 v56, v55, -v64
	v_mul_f32_e32 v57, v55, v62
	s_delay_alu instid0(VALU_DEP_3) | instskip(NEXT) | instid1(VALU_DEP_3)
	v_fmac_f32_e32 v24, 0, v58
	v_fmac_f32_e32 v56, v62, v54
	s_delay_alu instid0(VALU_DEP_1) | instskip(NEXT) | instid1(VALU_DEP_4)
	v_sub_f32_e32 v37, v37, v56
	v_fmac_f32_e32 v57, v64, v54
	s_delay_alu instid0(VALU_DEP_1) | instskip(SKIP_4) | instid1(VALU_DEP_2)
	v_sub_f32_e32 v38, v38, v57
	global_store_b64 v[35:36], v[37:38], off
	global_load_b64 v[35:36], v[25:26], off
	v_fma_f32 v37, v52, v51, 0
	v_fma_f32 v38, v51, v51, 1.0
	v_fmac_f32_e32 v37, v51, v52
	s_delay_alu instid0(VALU_DEP_2) | instskip(SKIP_1) | instid1(VALU_DEP_3)
	v_fma_f32 v38, -v52, v52, v38
	v_fma_f32 v11, -v56, v51, v11
	v_fmac_f32_e32 v37, v53, v58
	s_delay_alu instid0(VALU_DEP_1) | instskip(NEXT) | instid1(VALU_DEP_1)
	v_fmac_f32_e32 v37, v58, v53
	v_dual_fmac_f32 v38, v58, v58 :: v_dual_mul_f32 v59, v37, v37
	s_delay_alu instid0(VALU_DEP_1) | instskip(NEXT) | instid1(VALU_DEP_1)
	v_fma_f32 v38, -v53, v53, v38
	v_fmac_f32_e32 v59, v38, v38
	s_delay_alu instid0(VALU_DEP_1) | instskip(SKIP_1) | instid1(VALU_DEP_2)
	v_div_scale_f32 v60, null, v59, v59, 1.0
	v_div_scale_f32 v63, vcc_lo, 1.0, v59, 1.0
	v_rcp_f32_e32 v61, v60
	s_delay_alu instid0(TRANS32_DEP_1) | instskip(NEXT) | instid1(VALU_DEP_1)
	v_fma_f32 v62, -v60, v61, 1.0
	v_fmac_f32_e32 v61, v62, v61
	s_delay_alu instid0(VALU_DEP_1) | instskip(SKIP_2) | instid1(VALU_DEP_3)
	v_mul_f32_e32 v62, v63, v61
	v_fma_f32 v12, -v57, v51, v12
	v_fmac_f32_e32 v11, v57, v52
	v_fma_f32 v23, -v60, v62, v63
	v_fmac_f32_e32 v19, 0, v58
	s_delay_alu instid0(VALU_DEP_4) | instskip(NEXT) | instid1(VALU_DEP_3)
	v_fma_f32 v12, -v56, v52, v12
	v_fmac_f32_e32 v62, v23, v61
	s_delay_alu instid0(VALU_DEP_1)
	v_fma_f32 v20, -v60, v62, v63
	v_mul_f32_e64 v60, v55, -v24
	v_mul_f32_e32 v23, 0, v37
	v_mul_f32_e32 v37, -2.0, v37
	s_wait_alu 0xfffd
	v_div_fmas_f32 v20, v20, v61, v62
	s_delay_alu instid0(VALU_DEP_2) | instskip(NEXT) | instid1(VALU_DEP_2)
	v_fmac_f32_e32 v37, 0, v38
	v_div_fixup_f32 v20, v20, v59, 1.0
	v_fmac_f32_e32 v19, 0x80000000, v53
	s_delay_alu instid0(VALU_DEP_1) | instskip(NEXT) | instid1(VALU_DEP_1)
	v_mul_f32_e32 v61, v55, v19
	v_dual_fmac_f32 v61, v24, v54 :: v_dual_mul_f32 v24, v37, v20
	v_fmac_f32_e32 v60, v19, v54
	v_fmac_f32_e32 v23, 2.0, v38
	s_wait_loadcnt 0x5
	v_fma_f32 v19, v51, v17, v41
	v_sub_f32_e32 v14, v40, v61
	s_delay_alu instid0(VALU_DEP_2) | instskip(SKIP_3) | instid1(VALU_DEP_2)
	v_fma_f32 v19, -v52, v18, v19
	s_wait_loadcnt 0x4
	v_fma_f32 v38, v52, v15, v44
	v_fma_f32 v37, v51, v15, v43
	v_fmac_f32_e32 v38, v51, v16
	v_mul_f32_e32 v23, v23, v20
	v_fma_f32 v20, v52, v17, v42
	s_delay_alu instid0(VALU_DEP_4) | instskip(NEXT) | instid1(VALU_DEP_4)
	v_fma_f32 v37, -v52, v16, v37
	v_fmac_f32_e32 v38, 0, v53
	s_delay_alu instid0(VALU_DEP_3) | instskip(NEXT) | instid1(VALU_DEP_3)
	v_fmac_f32_e32 v20, v51, v18
	v_fmac_f32_e32 v37, 0, v58
	s_delay_alu instid0(VALU_DEP_3) | instskip(NEXT) | instid1(VALU_DEP_3)
	v_fmac_f32_e32 v38, 0, v58
	v_dual_fmac_f32 v20, 0, v53 :: v_dual_sub_f32 v13, v39, v60
	s_delay_alu instid0(VALU_DEP_2) | instskip(NEXT) | instid1(VALU_DEP_2)
	v_mul_f32_e64 v59, v55, -v38
	v_fmac_f32_e32 v20, 0, v58
	global_store_b64 v[21:22], v[13:14], off
	s_wait_loadcnt 0x1
	v_fma_f32 v22, v52, v5, v50
	v_fma_f32 v13, v51, v45, v47
	;; [unrolled: 1-line block ×4, first 2 shown]
	s_delay_alu instid0(VALU_DEP_4)
	v_dual_fmac_f32 v37, 0x80000000, v53 :: v_dual_fmac_f32 v22, v51, v6
	v_fmac_f32_e32 v19, 0, v58
	v_fma_f32 v39, -v52, v46, v13
	v_fmac_f32_e32 v21, v51, v46
	v_fma_f32 v40, -v52, v6, v14
	v_mul_f32_e32 v60, v55, v37
	v_fmac_f32_e32 v19, 0x80000000, v53
	v_fmac_f32_e32 v22, 0, v53
	s_delay_alu instid0(VALU_DEP_4) | instskip(NEXT) | instid1(VALU_DEP_3)
	v_dual_fmac_f32 v21, 0, v53 :: v_dual_fmac_f32 v40, 0, v58
	v_dual_fmac_f32 v39, 0, v58 :: v_dual_mul_f32 v46, v55, v19
	v_mul_f32_e64 v45, v55, -v20
	v_fmac_f32_e32 v60, v38, v54
	s_delay_alu instid0(VALU_DEP_4) | instskip(NEXT) | instid1(VALU_DEP_4)
	v_fmac_f32_e32 v40, 0x80000000, v53
	v_dual_fmac_f32 v39, 0x80000000, v53 :: v_dual_fmac_f32 v46, v20, v54
	s_delay_alu instid0(VALU_DEP_3) | instskip(NEXT) | instid1(VALU_DEP_2)
	v_dual_fmac_f32 v45, v19, v54 :: v_dual_sub_f32 v20, v44, v60
	v_dual_fmac_f32 v59, v37, v54 :: v_dual_mul_f32 v38, v55, v39
	v_fmac_f32_e32 v21, 0, v58
	s_delay_alu instid0(VALU_DEP_3) | instskip(NEXT) | instid1(VALU_DEP_3)
	v_dual_fmac_f32 v22, 0, v58 :: v_dual_sub_f32 v13, v41, v45
	v_sub_f32_e32 v19, v43, v59
	v_fma_f32 v17, -v45, v51, v17
	v_fma_f32 v18, -v46, v51, v18
	s_delay_alu instid0(VALU_DEP_4)
	v_mul_f32_e64 v41, v24, -v22
	v_mul_f32_e32 v24, v24, v40
	v_mul_f32_e64 v37, v55, -v21
	v_fma_f32 v15, -v59, v51, v15
	v_fma_f32 v16, -v60, v51, v16
	v_sub_f32_e32 v14, v42, v46
	v_dual_fmac_f32 v17, v46, v52 :: v_dual_fmac_f32 v38, v21, v54
	v_dual_fmac_f32 v37, v39, v54 :: v_dual_fmac_f32 v24, v22, v23
	v_fma_f32 v18, -v45, v52, v18
	v_fmac_f32_e32 v41, v40, v23
	v_fmac_f32_e32 v15, v60, v52
	v_fma_f32 v16, -v59, v52, v16
	global_store_b64 v[33:34], v[13:14], off
	global_store_b64 v[27:28], v[19:20], off
	;; [unrolled: 1-line block ×4, first 2 shown]
	v_sub_f32_e32 v10, v50, v24
	v_fma_f32 v5, -v51, v41, v5
	v_fma_f32 v6, -v52, v41, v6
	v_dual_sub_f32 v7, v47, v37 :: v_dual_sub_f32 v8, v48, v38
	v_sub_f32_e32 v9, v49, v41
	s_delay_alu instid0(VALU_DEP_4) | instskip(NEXT) | instid1(VALU_DEP_4)
	v_fmac_f32_e32 v5, v52, v24
	v_fma_f32 v6, -v51, v24, v6
	s_wait_loadcnt 0x0
	v_fma_f32 v13, -v37, v51, v35
	v_fma_f32 v14, -v38, v51, v36
	s_delay_alu instid0(VALU_DEP_2) | instskip(NEXT) | instid1(VALU_DEP_2)
	v_fmac_f32_e32 v13, v38, v52
	v_fma_f32 v14, -v37, v52, v14
	global_store_b64 v[31:32], v[7:8], off
	global_store_b64 v[29:30], v[9:10], off
	;; [unrolled: 1-line block ×5, first 2 shown]
.LBB7_22:
	s_wait_alu 0xfffe
	s_or_b32 exec_lo, exec_lo, s5
.LBB7_23:
	s_cmp_lt_i32 s16, 1
	s_cbranch_scc1 .LBB7_36
; %bb.24:
	v_mad_co_u64_u32 v[1:2], null, s18, s16, v[0:1]
	s_load_b64 s[0:1], s[0:1], 0x38
	s_add_co_i32 s2, s16, 3
	s_wait_alu 0xfffe
	v_mad_co_u64_u32 v[2:3], null, s18, s2, v[0:1]
	s_add_co_i32 s2, s16, 2
	s_wait_alu 0xfffe
	v_mad_co_u64_u32 v[3:4], null, s18, s2, v[0:1]
	s_add_co_i32 s2, s16, 1
	s_wait_alu 0xfffe
	v_mad_co_u64_u32 v[4:5], null, s18, s2, v[0:1]
	s_add_co_i32 s2, s16, -1
	s_wait_alu 0xfffe
	v_mad_co_u64_u32 v[5:6], null, s18, s2, v[0:1]
	v_mad_co_u64_u32 v[6:7], null, s17, s2, v[0:1]
	s_mov_b32 s2, s16
	s_branch .LBB7_26
.LBB7_25:                               ;   in Loop: Header=BB7_26 Depth=1
	v_lshlrev_b64_e32 v[7:8], 3, v[7:8]
	v_subrev_nc_u32_e32 v1, s18, v1
	v_subrev_nc_u32_e32 v2, s18, v2
	;; [unrolled: 1-line block ×5, first 2 shown]
	s_wait_kmcnt 0x0
	v_add_co_u32 v12, vcc_lo, s12, v7
	s_wait_alu 0xfffd
	v_add_co_ci_u32_e64 v13, null, s13, v8, vcc_lo
	v_add_co_u32 v9, vcc_lo, s6, v9
	s_wait_alu 0xfffd
	v_add_co_ci_u32_e64 v10, null, s7, v10, vcc_lo
	global_load_b64 v[12:13], v[12:13], off
	v_subrev_nc_u32_e32 v6, s17, v6
	s_add_co_i32 s3, s2, -1
	global_load_b64 v[9:10], v[9:10], off
	s_cmp_gt_u32 s2, 1
	s_wait_alu 0xfffe
	s_mov_b32 s2, s3
	s_wait_loadcnt 0x1
	v_mul_f32_e32 v14, v13, v13
	s_wait_loadcnt 0x0
	v_dual_sub_f32 v0, v10, v0 :: v_dual_sub_f32 v9, v9, v11
	s_delay_alu instid0(VALU_DEP_2) | instskip(NEXT) | instid1(VALU_DEP_2)
	v_fmac_f32_e32 v14, v12, v12
	v_mul_f32_e32 v11, v13, v0
	s_delay_alu instid0(VALU_DEP_3) | instskip(NEXT) | instid1(VALU_DEP_3)
	v_mul_f32_e64 v13, v13, -v9
	v_div_scale_f32 v15, null, v14, v14, 1.0
	v_div_scale_f32 v18, vcc_lo, 1.0, v14, 1.0
	s_delay_alu instid0(VALU_DEP_4) | instskip(NEXT) | instid1(VALU_DEP_3)
	v_fmac_f32_e32 v11, v9, v12
	v_rcp_f32_e32 v16, v15
	v_fmac_f32_e32 v13, v0, v12
	s_delay_alu instid0(TRANS32_DEP_1) | instskip(NEXT) | instid1(VALU_DEP_1)
	v_fma_f32 v17, -v15, v16, 1.0
	v_fmac_f32_e32 v16, v17, v16
	s_delay_alu instid0(VALU_DEP_1) | instskip(NEXT) | instid1(VALU_DEP_1)
	v_mul_f32_e32 v17, v18, v16
	v_fma_f32 v19, -v15, v17, v18
	s_delay_alu instid0(VALU_DEP_1) | instskip(NEXT) | instid1(VALU_DEP_1)
	v_fmac_f32_e32 v17, v19, v16
	v_fma_f32 v10, -v15, v17, v18
	s_wait_alu 0xfffd
	s_delay_alu instid0(VALU_DEP_1) | instskip(SKIP_3) | instid1(VALU_DEP_3)
	v_div_fmas_f32 v10, v10, v16, v17
	v_add_co_u32 v7, vcc_lo, s0, v7
	s_wait_alu 0xfffd
	v_add_co_ci_u32_e64 v8, null, s1, v8, vcc_lo
	v_div_fixup_f32 v0, v10, v14, 1.0
	s_delay_alu instid0(VALU_DEP_1)
	v_dual_mul_f32 v9, v0, v11 :: v_dual_mul_f32 v10, v13, v0
	global_store_b64 v[7:8], v[9:10], off
	s_cbranch_scc0 .LBB7_36
.LBB7_26:                               ; =>This Inner Loop Header: Depth=1
	v_dual_mov_b32 v0, 0 :: v_dual_add_nc_u32 v7, s19, v5
	v_mov_b32_e32 v11, 0
	s_wait_alu 0xfffe
	s_cmp_ge_i32 s2, s16
	s_delay_alu instid0(VALU_DEP_2)
	v_ashrrev_i32_e32 v8, 31, v7
	s_cbranch_scc1 .LBB7_28
; %bb.27:                               ;   in Loop: Header=BB7_26 Depth=1
	v_add_nc_u32_e32 v9, s19, v1
	s_delay_alu instid0(VALU_DEP_2) | instskip(NEXT) | instid1(VALU_DEP_2)
	v_lshlrev_b64_e32 v[11:12], 3, v[7:8]
	v_ashrrev_i32_e32 v10, 31, v9
	s_wait_kmcnt 0x0
	s_delay_alu instid0(VALU_DEP_2) | instskip(SKIP_1) | instid1(VALU_DEP_3)
	v_add_co_u32 v11, vcc_lo, s14, v11
	s_wait_alu 0xfffd
	v_add_co_ci_u32_e64 v12, null, s15, v12, vcc_lo
	v_lshlrev_b64_e32 v[9:10], 3, v[9:10]
	s_delay_alu instid0(VALU_DEP_1) | instskip(SKIP_1) | instid1(VALU_DEP_2)
	v_add_co_u32 v9, vcc_lo, s0, v9
	s_wait_alu 0xfffd
	v_add_co_ci_u32_e64 v10, null, s1, v10, vcc_lo
	global_load_b64 v[11:12], v[11:12], off
	global_load_b64 v[9:10], v[9:10], off
	s_wait_loadcnt 0x0
	v_mul_f32_e64 v0, v10, -v12
	v_mul_f32_e32 v10, v10, v11
	s_delay_alu instid0(VALU_DEP_2) | instskip(NEXT) | instid1(VALU_DEP_1)
	v_fmac_f32_e32 v0, v11, v9
	v_dual_fmac_f32 v10, v12, v9 :: v_dual_add_f32 v11, 0, v0
	s_delay_alu instid0(VALU_DEP_1)
	v_add_f32_e32 v0, 0, v10
.LBB7_28:                               ;   in Loop: Header=BB7_26 Depth=1
	s_add_co_i32 s3, s2, 1
	s_wait_alu 0xfffe
	s_cmp_ge_i32 s3, s16
	s_cbranch_scc1 .LBB7_30
; %bb.29:                               ;   in Loop: Header=BB7_26 Depth=1
	v_add_nc_u32_e32 v9, s19, v4
	v_lshlrev_b64_e32 v[12:13], 3, v[7:8]
	s_delay_alu instid0(VALU_DEP_2) | instskip(SKIP_1) | instid1(VALU_DEP_2)
	v_ashrrev_i32_e32 v10, 31, v9
	s_wait_kmcnt 0x0
	v_add_co_u32 v12, vcc_lo, s20, v12
	s_wait_alu 0xfffd
	s_delay_alu instid0(VALU_DEP_3) | instskip(SKIP_1) | instid1(VALU_DEP_1)
	v_add_co_ci_u32_e64 v13, null, s21, v13, vcc_lo
	v_lshlrev_b64_e32 v[9:10], 3, v[9:10]
	v_add_co_u32 v9, vcc_lo, s0, v9
	s_wait_alu 0xfffd
	s_delay_alu instid0(VALU_DEP_2) | instskip(SKIP_4) | instid1(VALU_DEP_1)
	v_add_co_ci_u32_e64 v10, null, s1, v10, vcc_lo
	global_load_b64 v[12:13], v[12:13], off
	global_load_b64 v[9:10], v[9:10], off
	s_wait_loadcnt 0x0
	v_mul_f32_e64 v14, v10, -v13
	v_fmac_f32_e32 v14, v12, v9
	s_delay_alu instid0(VALU_DEP_1) | instskip(NEXT) | instid1(VALU_DEP_1)
	v_dual_mul_f32 v10, v10, v12 :: v_dual_add_f32 v11, v11, v14
	v_fmac_f32_e32 v10, v13, v9
	s_delay_alu instid0(VALU_DEP_1)
	v_add_f32_e32 v0, v0, v10
.LBB7_30:                               ;   in Loop: Header=BB7_26 Depth=1
	v_add_nc_u32_e32 v9, s19, v6
	s_add_co_i32 s3, s3, 1
	s_mov_b32 s4, -1
	s_wait_alu 0xfffe
	s_cmp_lt_i32 s3, s16
	s_cbranch_scc0 .LBB7_33
; %bb.31:                               ;   in Loop: Header=BB7_26 Depth=1
	s_and_not1_b32 vcc_lo, exec_lo, s4
	s_wait_alu 0xfffe
	s_cbranch_vccz .LBB7_34
.LBB7_32:                               ;   in Loop: Header=BB7_26 Depth=1
	s_delay_alu instid0(VALU_DEP_1)
	v_lshlrev_b64_e32 v[9:10], 3, v[9:10]
	s_add_co_i32 s3, s3, 1
	s_wait_alu 0xfffe
	s_cmp_ge_i32 s3, s16
	s_cbranch_scc1 .LBB7_25
	s_branch .LBB7_35
.LBB7_33:                               ;   in Loop: Header=BB7_26 Depth=1
	v_ashrrev_i32_e32 v10, 31, v9
	s_cbranch_execnz .LBB7_32
.LBB7_34:                               ;   in Loop: Header=BB7_26 Depth=1
	v_add_nc_u32_e32 v12, s19, v3
	v_ashrrev_i32_e32 v10, 31, v9
	s_delay_alu instid0(VALU_DEP_2) | instskip(NEXT) | instid1(VALU_DEP_2)
	v_ashrrev_i32_e32 v13, 31, v12
	v_lshlrev_b64_e32 v[14:15], 3, v[9:10]
	s_delay_alu instid0(VALU_DEP_2) | instskip(SKIP_1) | instid1(VALU_DEP_2)
	v_lshlrev_b64_e32 v[12:13], 3, v[12:13]
	s_wait_kmcnt 0x0
	v_add_co_u32 v14, vcc_lo, s8, v14
	s_wait_alu 0xfffd
	s_delay_alu instid0(VALU_DEP_3) | instskip(NEXT) | instid1(VALU_DEP_3)
	v_add_co_ci_u32_e64 v15, null, s9, v15, vcc_lo
	v_add_co_u32 v12, vcc_lo, s0, v12
	s_wait_alu 0xfffd
	v_add_co_ci_u32_e64 v13, null, s1, v13, vcc_lo
	global_load_b64 v[14:15], v[14:15], off
	global_load_b64 v[12:13], v[12:13], off
	s_wait_loadcnt 0x0
	v_mul_f32_e64 v16, v13, -v15
	s_delay_alu instid0(VALU_DEP_1) | instskip(NEXT) | instid1(VALU_DEP_1)
	v_dual_mul_f32 v13, v13, v14 :: v_dual_fmac_f32 v16, v14, v12
	v_fmac_f32_e32 v13, v15, v12
	s_delay_alu instid0(VALU_DEP_1)
	v_dual_add_f32 v11, v11, v16 :: v_dual_add_f32 v0, v0, v13
	v_lshlrev_b64_e32 v[9:10], 3, v[9:10]
	s_add_co_i32 s3, s3, 1
	s_wait_alu 0xfffe
	s_cmp_ge_i32 s3, s16
	s_cbranch_scc1 .LBB7_25
.LBB7_35:                               ;   in Loop: Header=BB7_26 Depth=1
	v_add_nc_u32_e32 v12, s19, v2
	s_wait_kmcnt 0x0
	v_add_co_u32 v14, vcc_lo, s10, v9
	s_wait_alu 0xfffd
	v_add_co_ci_u32_e64 v15, null, s11, v10, vcc_lo
	v_ashrrev_i32_e32 v13, 31, v12
	s_delay_alu instid0(VALU_DEP_1) | instskip(NEXT) | instid1(VALU_DEP_1)
	v_lshlrev_b64_e32 v[12:13], 3, v[12:13]
	v_add_co_u32 v12, vcc_lo, s0, v12
	s_wait_alu 0xfffd
	s_delay_alu instid0(VALU_DEP_2) | instskip(SKIP_4) | instid1(VALU_DEP_1)
	v_add_co_ci_u32_e64 v13, null, s1, v13, vcc_lo
	global_load_b64 v[14:15], v[14:15], off
	global_load_b64 v[12:13], v[12:13], off
	s_wait_loadcnt 0x0
	v_mul_f32_e64 v16, v13, -v15
	v_dual_mul_f32 v13, v13, v14 :: v_dual_fmac_f32 v16, v14, v12
	s_delay_alu instid0(VALU_DEP_1) | instskip(NEXT) | instid1(VALU_DEP_1)
	v_fmac_f32_e32 v13, v15, v12
	v_dual_add_f32 v11, v11, v16 :: v_dual_add_f32 v0, v0, v13
	s_branch .LBB7_25
.LBB7_36:
	s_endpgm
	.section	.rodata,"a",@progbits
	.p2align	6, 0x0
	.amdhsa_kernel _ZN9rocsparseL44gpsv_interleaved_batch_householder_qr_kernelILj256E21rocsparse_complex_numIfEEEviiiPT0_S4_S4_S4_S4_S4_S4_S4_S4_
		.amdhsa_group_segment_fixed_size 0
		.amdhsa_private_segment_fixed_size 0
		.amdhsa_kernarg_size 344
		.amdhsa_user_sgpr_count 2
		.amdhsa_user_sgpr_dispatch_ptr 0
		.amdhsa_user_sgpr_queue_ptr 0
		.amdhsa_user_sgpr_kernarg_segment_ptr 1
		.amdhsa_user_sgpr_dispatch_id 0
		.amdhsa_user_sgpr_private_segment_size 0
		.amdhsa_wavefront_size32 1
		.amdhsa_uses_dynamic_stack 0
		.amdhsa_enable_private_segment 0
		.amdhsa_system_sgpr_workgroup_id_x 1
		.amdhsa_system_sgpr_workgroup_id_y 0
		.amdhsa_system_sgpr_workgroup_id_z 0
		.amdhsa_system_sgpr_workgroup_info 0
		.amdhsa_system_vgpr_workitem_id 0
		.amdhsa_next_free_vgpr 91
		.amdhsa_next_free_sgpr 29
		.amdhsa_reserve_vcc 1
		.amdhsa_float_round_mode_32 0
		.amdhsa_float_round_mode_16_64 0
		.amdhsa_float_denorm_mode_32 3
		.amdhsa_float_denorm_mode_16_64 3
		.amdhsa_fp16_overflow 0
		.amdhsa_workgroup_processor_mode 1
		.amdhsa_memory_ordered 1
		.amdhsa_forward_progress 1
		.amdhsa_inst_pref_size 62
		.amdhsa_round_robin_scheduling 0
		.amdhsa_exception_fp_ieee_invalid_op 0
		.amdhsa_exception_fp_denorm_src 0
		.amdhsa_exception_fp_ieee_div_zero 0
		.amdhsa_exception_fp_ieee_overflow 0
		.amdhsa_exception_fp_ieee_underflow 0
		.amdhsa_exception_fp_ieee_inexact 0
		.amdhsa_exception_int_div_zero 0
	.end_amdhsa_kernel
	.section	.text._ZN9rocsparseL44gpsv_interleaved_batch_householder_qr_kernelILj256E21rocsparse_complex_numIfEEEviiiPT0_S4_S4_S4_S4_S4_S4_S4_S4_,"axG",@progbits,_ZN9rocsparseL44gpsv_interleaved_batch_householder_qr_kernelILj256E21rocsparse_complex_numIfEEEviiiPT0_S4_S4_S4_S4_S4_S4_S4_S4_,comdat
.Lfunc_end7:
	.size	_ZN9rocsparseL44gpsv_interleaved_batch_householder_qr_kernelILj256E21rocsparse_complex_numIfEEEviiiPT0_S4_S4_S4_S4_S4_S4_S4_S4_, .Lfunc_end7-_ZN9rocsparseL44gpsv_interleaved_batch_householder_qr_kernelILj256E21rocsparse_complex_numIfEEEviiiPT0_S4_S4_S4_S4_S4_S4_S4_S4_
                                        ; -- End function
	.set _ZN9rocsparseL44gpsv_interleaved_batch_householder_qr_kernelILj256E21rocsparse_complex_numIfEEEviiiPT0_S4_S4_S4_S4_S4_S4_S4_S4_.num_vgpr, 91
	.set _ZN9rocsparseL44gpsv_interleaved_batch_householder_qr_kernelILj256E21rocsparse_complex_numIfEEEviiiPT0_S4_S4_S4_S4_S4_S4_S4_S4_.num_agpr, 0
	.set _ZN9rocsparseL44gpsv_interleaved_batch_householder_qr_kernelILj256E21rocsparse_complex_numIfEEEviiiPT0_S4_S4_S4_S4_S4_S4_S4_S4_.numbered_sgpr, 29
	.set _ZN9rocsparseL44gpsv_interleaved_batch_householder_qr_kernelILj256E21rocsparse_complex_numIfEEEviiiPT0_S4_S4_S4_S4_S4_S4_S4_S4_.num_named_barrier, 0
	.set _ZN9rocsparseL44gpsv_interleaved_batch_householder_qr_kernelILj256E21rocsparse_complex_numIfEEEviiiPT0_S4_S4_S4_S4_S4_S4_S4_S4_.private_seg_size, 0
	.set _ZN9rocsparseL44gpsv_interleaved_batch_householder_qr_kernelILj256E21rocsparse_complex_numIfEEEviiiPT0_S4_S4_S4_S4_S4_S4_S4_S4_.uses_vcc, 1
	.set _ZN9rocsparseL44gpsv_interleaved_batch_householder_qr_kernelILj256E21rocsparse_complex_numIfEEEviiiPT0_S4_S4_S4_S4_S4_S4_S4_S4_.uses_flat_scratch, 0
	.set _ZN9rocsparseL44gpsv_interleaved_batch_householder_qr_kernelILj256E21rocsparse_complex_numIfEEEviiiPT0_S4_S4_S4_S4_S4_S4_S4_S4_.has_dyn_sized_stack, 0
	.set _ZN9rocsparseL44gpsv_interleaved_batch_householder_qr_kernelILj256E21rocsparse_complex_numIfEEEviiiPT0_S4_S4_S4_S4_S4_S4_S4_S4_.has_recursion, 0
	.set _ZN9rocsparseL44gpsv_interleaved_batch_householder_qr_kernelILj256E21rocsparse_complex_numIfEEEviiiPT0_S4_S4_S4_S4_S4_S4_S4_S4_.has_indirect_call, 0
	.section	.AMDGPU.csdata,"",@progbits
; Kernel info:
; codeLenInByte = 7824
; TotalNumSgprs: 31
; NumVgprs: 91
; ScratchSize: 0
; MemoryBound: 0
; FloatMode: 240
; IeeeMode: 1
; LDSByteSize: 0 bytes/workgroup (compile time only)
; SGPRBlocks: 0
; VGPRBlocks: 11
; NumSGPRsForWavesPerEU: 31
; NumVGPRsForWavesPerEU: 91
; Occupancy: 16
; WaveLimiterHint : 0
; COMPUTE_PGM_RSRC2:SCRATCH_EN: 0
; COMPUTE_PGM_RSRC2:USER_SGPR: 2
; COMPUTE_PGM_RSRC2:TRAP_HANDLER: 0
; COMPUTE_PGM_RSRC2:TGID_X_EN: 1
; COMPUTE_PGM_RSRC2:TGID_Y_EN: 0
; COMPUTE_PGM_RSRC2:TGID_Z_EN: 0
; COMPUTE_PGM_RSRC2:TIDIG_COMP_CNT: 0
	.section	.text._ZN9rocsparseL39gpsv_interleaved_batch_givens_qr_kernelILj128E21rocsparse_complex_numIfEEEviiiPT0_S4_S4_S4_S4_S4_S4_S4_,"axG",@progbits,_ZN9rocsparseL39gpsv_interleaved_batch_givens_qr_kernelILj128E21rocsparse_complex_numIfEEEviiiPT0_S4_S4_S4_S4_S4_S4_S4_,comdat
	.globl	_ZN9rocsparseL39gpsv_interleaved_batch_givens_qr_kernelILj128E21rocsparse_complex_numIfEEEviiiPT0_S4_S4_S4_S4_S4_S4_S4_ ; -- Begin function _ZN9rocsparseL39gpsv_interleaved_batch_givens_qr_kernelILj128E21rocsparse_complex_numIfEEEviiiPT0_S4_S4_S4_S4_S4_S4_S4_
	.p2align	8
	.type	_ZN9rocsparseL39gpsv_interleaved_batch_givens_qr_kernelILj128E21rocsparse_complex_numIfEEEviiiPT0_S4_S4_S4_S4_S4_S4_S4_,@function
_ZN9rocsparseL39gpsv_interleaved_batch_givens_qr_kernelILj128E21rocsparse_complex_numIfEEEviiiPT0_S4_S4_S4_S4_S4_S4_S4_: ; @_ZN9rocsparseL39gpsv_interleaved_batch_givens_qr_kernelILj128E21rocsparse_complex_numIfEEEviiiPT0_S4_S4_S4_S4_S4_S4_S4_
; %bb.0:
	s_load_b96 s[16:18], s[0:1], 0x0
	s_lshl_b32 s19, ttmp9, 7
	s_mov_b32 s2, exec_lo
	v_or_b32_e32 v1, s19, v0
	s_wait_kmcnt 0x0
	s_delay_alu instid0(VALU_DEP_1)
	v_cmpx_gt_i32_e64 s17, v1
	s_cbranch_execz .LBB8_25
; %bb.1:
	s_clause 0x2
	s_load_b64 s[2:3], s[0:1], 0x48
	s_load_b128 s[12:15], s[0:1], 0x38
	s_load_b256 s[4:11], s[0:1], 0x18
	s_add_co_i32 s22, s16, -2
	s_cmp_lt_i32 s16, 3
	s_cbranch_scc1 .LBB8_16
; %bb.2:
	s_load_b64 s[20:21], s[0:1], 0x10
	v_mov_b32_e32 v26, v1
	v_mov_b32_e32 v28, v1
	s_lshl_b32 s1, s18, 1
	s_mov_b32 s23, s22
	s_branch .LBB8_4
.LBB8_3:                                ;   in Loop: Header=BB8_4 Depth=1
	s_or_b32 exec_lo, exec_lo, s24
	global_load_b64 v[23:24], v[9:10], off
	v_add_co_u32 v29, vcc_lo, s2, v62
	s_wait_alu 0xfffd
	v_add_co_ci_u32_e64 v30, null, s3, v63, vcc_lo
	v_mul_f32_e32 v25, 0x4f800000, v22
	v_cmp_gt_f32_e32 vcc_lo, 0xf800000, v22
	s_add_co_i32 s23, s23, -1
	global_load_b64 v[34:35], v[29:30], off
	s_cmp_eq_u32 s23, 0
	s_wait_alu 0xfffd
	v_dual_mul_f32 v49, 0x80000000, v42 :: v_dual_cndmask_b32 v22, v22, v25
	v_mul_f32_e32 v57, 0x80000000, v54
	s_delay_alu instid0(VALU_DEP_2) | instskip(NEXT) | instid1(TRANS32_DEP_1)
	v_sqrt_f32_e32 v25, v22
	v_add_nc_u32_e32 v28, -1, v25
	v_add_nc_u32_e32 v31, 1, v25
	s_delay_alu instid0(VALU_DEP_2) | instskip(NEXT) | instid1(VALU_DEP_2)
	v_fma_f32 v46, -v28, v25, v22
	v_fma_f32 v47, -v31, v25, v22
	s_delay_alu instid0(VALU_DEP_2) | instskip(SKIP_1) | instid1(VALU_DEP_1)
	v_cmp_ge_f32_e64 s0, 0, v46
	s_wait_alu 0xf1ff
	v_cndmask_b32_e64 v25, v25, v28, s0
	s_delay_alu instid0(VALU_DEP_3) | instskip(SKIP_1) | instid1(VALU_DEP_1)
	v_cmp_lt_f32_e64 s0, 0, v47
	s_wait_alu 0xf1ff
	v_cndmask_b32_e64 v25, v25, v31, s0
	s_delay_alu instid0(VALU_DEP_1) | instskip(NEXT) | instid1(VALU_DEP_1)
	v_mul_f32_e32 v28, 0x37800000, v25
	v_cndmask_b32_e32 v25, v25, v28, vcc_lo
	v_cmp_class_f32_e64 vcc_lo, v22, 0x260
	s_wait_alu 0xfffd
	s_delay_alu instid0(VALU_DEP_2) | instskip(NEXT) | instid1(VALU_DEP_1)
	v_cndmask_b32_e32 v22, v25, v22, vcc_lo
	v_fma_f32 v25, v22, v22, 0
	s_delay_alu instid0(VALU_DEP_1) | instskip(SKIP_1) | instid1(VALU_DEP_2)
	v_div_scale_f32 v28, null, v25, v25, 1.0
	v_div_scale_f32 v47, vcc_lo, 1.0, v25, 1.0
	v_rcp_f32_e32 v31, v28
	s_delay_alu instid0(TRANS32_DEP_1) | instskip(NEXT) | instid1(VALU_DEP_1)
	v_fma_f32 v46, -v28, v31, 1.0
	v_fmac_f32_e32 v31, v46, v31
	s_delay_alu instid0(VALU_DEP_1) | instskip(NEXT) | instid1(VALU_DEP_1)
	v_mul_f32_e32 v46, v47, v31
	v_fma_f32 v48, -v28, v46, v47
	s_delay_alu instid0(VALU_DEP_1) | instskip(SKIP_1) | instid1(VALU_DEP_2)
	v_fmac_f32_e32 v46, v48, v31
	v_mul_f32_e32 v48, 0x80000000, v43
	v_fma_f32 v28, -v28, v46, v47
	s_wait_alu 0xfffd
	s_delay_alu instid0(VALU_DEP_1) | instskip(SKIP_3) | instid1(VALU_DEP_3)
	v_div_fmas_f32 v28, v28, v31, v46
	v_add_co_u32 v46, vcc_lo, s14, v26
	s_wait_alu 0xfffd
	v_add_co_ci_u32_e64 v47, null, s15, v27, vcc_lo
	v_div_fixup_f32 v25, v28, v25, 1.0
	v_mov_b32_e32 v28, v11
	v_fma_f32 v11, -v43, v22, v49
	s_delay_alu instid0(VALU_DEP_1) | instskip(SKIP_3) | instid1(VALU_DEP_4)
	v_dual_mul_f32 v56, 0x80000000, v55 :: v_dual_mul_f32 v11, v11, v25
	v_mov_b32_e32 v26, v8
	v_fma_f32 v8, -v55, v22, v57
	v_fmac_f32_e32 v48, v42, v22
	v_dual_fmac_f32 v56, v54, v22 :: v_dual_mul_f32 v61, v11, v39
	v_mul_f32_e64 v49, v40, -v11
	v_mul_f32_e64 v65, v36, -v11
	s_delay_alu instid0(VALU_DEP_4) | instskip(SKIP_4) | instid1(VALU_DEP_4)
	v_dual_mul_f32 v67, v33, v11 :: v_dual_mul_f32 v22, v48, v25
	v_mul_f32_e32 v8, v8, v25
	v_mul_f32_e32 v25, v56, v25
	;; [unrolled: 1-line block ×4, first 2 shown]
	v_dual_fmac_f32 v49, v41, v22 :: v_dual_mul_f32 v58, v36, v8
	v_fmac_f32_e32 v65, v37, v22
	v_mul_f32_e64 v66, v8, -v37
	v_mul_f32_e64 v27, v8, -v55
	;; [unrolled: 1-line block ×3, first 2 shown]
	v_fmac_f32_e32 v58, v37, v25
	s_wait_loadcnt 0x2
	v_fma_f32 v37, -v51, v25, v65
	v_mul_f32_e64 v68, v32, -v11
	v_dual_mul_f32 v56, v40, v8 :: v_dual_fmac_f32 v27, v54, v25
	v_mul_f32_e64 v69, v8, -v33
	s_delay_alu instid0(VALU_DEP_4) | instskip(SKIP_4) | instid1(VALU_DEP_4)
	v_fmac_f32_e32 v37, v50, v8
	v_dual_mul_f32 v48, v54, v8 :: v_dual_fmac_f32 v31, v40, v22
	v_mul_f32_e64 v62, v38, -v11
	v_mul_f32_e64 v63, v8, -v39
	v_mul_f32_e32 v64, v8, v38
	v_dual_fmac_f32 v48, v55, v25 :: v_dual_fmac_f32 v59, v36, v22
	v_dual_fmac_f32 v57, v40, v25 :: v_dual_fmac_f32 v68, v33, v22
	;; [unrolled: 1-line block ×4, first 2 shown]
	v_fmac_f32_e32 v63, v38, v25
	v_fmac_f32_e32 v64, v39, v25
	;; [unrolled: 1-line block ×3, first 2 shown]
	v_fma_f32 v39, -v45, v25, v68
	v_dual_mul_f32 v60, v32, v8 :: v_dual_fmac_f32 v61, v38, v22
	v_dual_fmac_f32 v56, v41, v25 :: v_dual_fmac_f32 v67, v32, v22
	v_fma_f32 v31, -v52, v25, v31
	v_fma_f32 v32, -v53, v25, v49
	v_dual_fmac_f32 v48, v42, v11 :: v_dual_fmac_f32 v39, v44, v8
	global_store_b64 v[46:47], v[63:64], off
	v_fma_f32 v47, -v43, v11, v27
	v_fma_f32 v31, v53, -v8, v31
	v_fmac_f32_e32 v32, v52, v8
	s_clause 0x1
	global_store_b64 v[20:21], v[47:48], off
	global_store_b64 v[2:3], v[31:32], off
	v_dual_fmac_f32 v60, v33, v25 :: v_dual_fmac_f32 v69, v44, v22
	v_fmac_f32_e32 v57, v52, v22
	v_fma_f32 v33, -v50, v25, v59
	v_fmac_f32_e32 v66, v50, v22
	v_fma_f32 v38, -v44, v25, v67
	v_fma_f32 v59, -v45, v11, v69
	;; [unrolled: 1-line block ×3, first 2 shown]
	v_fma_f32 v36, v51, -v8, v33
	v_fma_f32 v57, -v51, v11, v66
	v_fma_f32 v38, v45, -v8, v38
	s_wait_loadcnt 0x1
	v_dual_mul_f32 v3, v8, v23 :: v_dual_fmac_f32 v56, v53, v22
	v_mul_f32_e64 v21, v23, -v11
	v_mul_f32_e64 v2, v8, -v24
	s_delay_alu instid0(VALU_DEP_3) | instskip(NEXT) | instid1(VALU_DEP_4)
	v_dual_mul_f32 v20, v11, v24 :: v_dual_fmac_f32 v3, v24, v25
	v_fmac_f32_e32 v56, v52, v11
	s_delay_alu instid0(VALU_DEP_3) | instskip(NEXT) | instid1(VALU_DEP_3)
	v_dual_fmac_f32 v21, v24, v22 :: v_dual_fmac_f32 v2, v23, v25
	v_fmac_f32_e32 v20, v23, v22
	s_wait_loadcnt 0x0
	v_fmac_f32_e32 v3, v35, v22
	v_fmac_f32_e32 v58, v51, v22
	s_clause 0x1
	global_store_b64 v[18:19], v[55:56], off
	global_store_b64 v[4:5], v[36:37], off
	v_fma_f32 v5, -v35, v25, v21
	v_fmac_f32_e32 v60, v45, v22
	v_fmac_f32_e32 v2, v34, v22
	v_fma_f32 v4, -v34, v25, v20
	v_fmac_f32_e32 v3, v34, v11
	v_fmac_f32_e32 v58, v50, v11
	v_dual_fmac_f32 v5, v34, v8 :: v_dual_fmac_f32 v60, v44, v11
	v_fma_f32 v2, -v35, v11, v2
	v_fma_f32 v4, v35, -v8, v4
	s_clause 0x1
	global_store_b64 v[14:15], v[57:58], off
	global_store_b64 v[6:7], v[38:39], off
	s_clause 0x1
	global_store_b64 v[12:13], v[59:60], off
	global_store_b64 v[16:17], v[61:62], off
	;; [unrolled: 3-line block ×3, first 2 shown]
	s_cbranch_scc1 .LBB8_16
.LBB8_4:                                ; =>This Inner Loop Header: Depth=1
	v_add_nc_u32_e32 v2, s1, v26
	v_add_nc_u32_e32 v8, s18, v26
                                        ; implicit-def: $vgpr15
	s_mov_b32 s0, exec_lo
	s_delay_alu instid0(VALU_DEP_2) | instskip(NEXT) | instid1(VALU_DEP_2)
	v_ashrrev_i32_e32 v3, 31, v2
	v_ashrrev_i32_e32 v9, 31, v8
	s_delay_alu instid0(VALU_DEP_2) | instskip(NEXT) | instid1(VALU_DEP_2)
	v_lshlrev_b64_e32 v[12:13], 3, v[2:3]
	v_lshlrev_b64_e32 v[9:10], 3, v[8:9]
	s_wait_kmcnt 0x0
	s_delay_alu instid0(VALU_DEP_2) | instskip(SKIP_1) | instid1(VALU_DEP_3)
	v_add_co_u32 v2, vcc_lo, s20, v12
	s_wait_alu 0xfffd
	v_add_co_ci_u32_e64 v3, null, s21, v13, vcc_lo
	s_delay_alu instid0(VALU_DEP_3)
	v_add_co_u32 v22, vcc_lo, s4, v9
	s_wait_alu 0xfffd
	v_add_co_ci_u32_e64 v23, null, s5, v10, vcc_lo
	global_load_b64 v[30:31], v[2:3], off
	v_add_co_u32 v24, vcc_lo, s4, v12
	global_load_b64 v[34:35], v[22:23], off
	s_wait_alu 0xfffd
	v_add_co_ci_u32_e64 v25, null, s5, v13, vcc_lo
	v_add_co_u32 v2, vcc_lo, s6, v9
	s_wait_alu 0xfffd
	v_add_co_ci_u32_e64 v3, null, s7, v10, vcc_lo
	v_add_co_u32 v42, vcc_lo, s6, v12
	;; [unrolled: 3-line block ×6, first 2 shown]
	s_wait_alu 0xfffd
	v_add_co_ci_u32_e64 v53, null, s11, v13, vcc_lo
	global_load_b64 v[48:49], v[24:25], off
	s_clause 0x1
	global_load_b64 v[46:47], v[2:3], off
	global_load_b64 v[60:61], v[42:43], off
	s_clause 0x1
	global_load_b64 v[54:55], v[4:5], off
	;; [unrolled: 3-line block ×3, first 2 shown]
	global_load_b64 v[56:57], v[52:53], off
	s_wait_loadcnt 0x8
	v_mul_f32_e64 v14, v30, -v31
	v_mul_f32_e32 v11, v31, v31
	s_delay_alu instid0(VALU_DEP_2) | instskip(NEXT) | instid1(VALU_DEP_2)
	v_fmac_f32_e32 v14, v31, v30
	v_fmac_f32_e32 v11, v30, v30
	s_wait_loadcnt 0x7
	s_delay_alu instid0(VALU_DEP_2) | instskip(NEXT) | instid1(VALU_DEP_2)
	v_fmac_f32_e32 v14, v35, v34
	v_fmac_f32_e32 v11, v34, v34
	s_delay_alu instid0(VALU_DEP_2) | instskip(NEXT) | instid1(VALU_DEP_2)
	v_fma_f32 v16, v34, -v35, v14
	v_fmac_f32_e32 v11, v35, v35
	s_delay_alu instid0(VALU_DEP_2) | instskip(SKIP_2) | instid1(VALU_DEP_1)
	v_cmp_gt_f32_e32 vcc_lo, 0, v16
	s_wait_alu 0xfffd
	v_cndmask_b32_e64 v14, v16, -v16, vcc_lo
	v_cmpx_ngt_f32_e32 v11, v14
	s_wait_alu 0xfffe
	s_xor_b32 s24, exec_lo, s0
	s_cbranch_execz .LBB8_8
; %bb.5:                                ;   in Loop: Header=BB8_4 Depth=1
	v_mov_b32_e32 v15, 0
	s_mov_b32 s25, exec_lo
	v_cmpx_neq_f32_e32 0, v16
	s_cbranch_execz .LBB8_7
; %bb.6:                                ;   in Loop: Header=BB8_4 Depth=1
	v_div_scale_f32 v15, null, v14, v14, v11
	v_div_scale_f32 v18, vcc_lo, v11, v14, v11
	s_delay_alu instid0(VALU_DEP_2) | instskip(NEXT) | instid1(TRANS32_DEP_1)
	v_rcp_f32_e32 v16, v15
	v_fma_f32 v17, -v15, v16, 1.0
	s_delay_alu instid0(VALU_DEP_1) | instskip(NEXT) | instid1(VALU_DEP_1)
	v_fmac_f32_e32 v16, v17, v16
	v_mul_f32_e32 v17, v18, v16
	s_delay_alu instid0(VALU_DEP_1) | instskip(NEXT) | instid1(VALU_DEP_1)
	v_fma_f32 v19, -v15, v17, v18
	v_fmac_f32_e32 v17, v19, v16
	s_delay_alu instid0(VALU_DEP_1) | instskip(SKIP_1) | instid1(VALU_DEP_1)
	v_fma_f32 v15, -v15, v17, v18
	s_wait_alu 0xfffd
	v_div_fmas_f32 v15, v15, v16, v17
	s_delay_alu instid0(VALU_DEP_1) | instskip(NEXT) | instid1(VALU_DEP_1)
	v_div_fixup_f32 v11, v15, v14, v11
	v_fma_f32 v11, v11, v11, 1.0
	s_delay_alu instid0(VALU_DEP_1) | instskip(SKIP_2) | instid1(VALU_DEP_2)
	v_mul_f32_e32 v15, 0x4f800000, v11
	v_cmp_gt_f32_e32 vcc_lo, 0xf800000, v11
	s_wait_alu 0xfffd
	v_cndmask_b32_e32 v11, v11, v15, vcc_lo
	s_delay_alu instid0(VALU_DEP_1) | instskip(NEXT) | instid1(TRANS32_DEP_1)
	v_sqrt_f32_e32 v15, v11
	v_add_nc_u32_e32 v16, -1, v15
	v_add_nc_u32_e32 v17, 1, v15
	s_delay_alu instid0(VALU_DEP_2) | instskip(NEXT) | instid1(VALU_DEP_2)
	v_fma_f32 v18, -v16, v15, v11
	v_fma_f32 v19, -v17, v15, v11
	s_delay_alu instid0(VALU_DEP_2) | instskip(SKIP_1) | instid1(VALU_DEP_1)
	v_cmp_ge_f32_e64 s0, 0, v18
	s_wait_alu 0xf1ff
	v_cndmask_b32_e64 v15, v15, v16, s0
	s_delay_alu instid0(VALU_DEP_3) | instskip(SKIP_1) | instid1(VALU_DEP_1)
	v_cmp_lt_f32_e64 s0, 0, v19
	s_wait_alu 0xf1ff
	v_cndmask_b32_e64 v15, v15, v17, s0
	s_delay_alu instid0(VALU_DEP_1) | instskip(NEXT) | instid1(VALU_DEP_1)
	v_mul_f32_e32 v16, 0x37800000, v15
	v_cndmask_b32_e32 v15, v15, v16, vcc_lo
	v_cmp_class_f32_e64 vcc_lo, v11, 0x260
	s_wait_alu 0xfffd
	s_delay_alu instid0(VALU_DEP_2) | instskip(NEXT) | instid1(VALU_DEP_1)
	v_cndmask_b32_e32 v11, v15, v11, vcc_lo
	v_mul_f32_e32 v15, v14, v11
.LBB8_7:                                ;   in Loop: Header=BB8_4 Depth=1
	s_or_b32 exec_lo, exec_lo, s25
                                        ; implicit-def: $vgpr11
                                        ; implicit-def: $vgpr14
.LBB8_8:                                ;   in Loop: Header=BB8_4 Depth=1
	s_and_not1_saveexec_b32 s24, s24
	s_cbranch_execz .LBB8_10
; %bb.9:                                ;   in Loop: Header=BB8_4 Depth=1
	v_div_scale_f32 v15, null, v11, v11, v14
	v_div_scale_f32 v18, vcc_lo, v14, v11, v14
	s_delay_alu instid0(VALU_DEP_2) | instskip(NEXT) | instid1(TRANS32_DEP_1)
	v_rcp_f32_e32 v16, v15
	v_fma_f32 v17, -v15, v16, 1.0
	s_delay_alu instid0(VALU_DEP_1) | instskip(NEXT) | instid1(VALU_DEP_1)
	v_fmac_f32_e32 v16, v17, v16
	v_mul_f32_e32 v17, v18, v16
	s_delay_alu instid0(VALU_DEP_1) | instskip(NEXT) | instid1(VALU_DEP_1)
	v_fma_f32 v19, -v15, v17, v18
	v_fmac_f32_e32 v17, v19, v16
	s_delay_alu instid0(VALU_DEP_1) | instskip(SKIP_1) | instid1(VALU_DEP_1)
	v_fma_f32 v15, -v15, v17, v18
	s_wait_alu 0xfffd
	v_div_fmas_f32 v15, v15, v16, v17
	s_delay_alu instid0(VALU_DEP_1) | instskip(NEXT) | instid1(VALU_DEP_1)
	v_div_fixup_f32 v14, v15, v11, v14
	v_fma_f32 v14, v14, v14, 1.0
	s_delay_alu instid0(VALU_DEP_1) | instskip(SKIP_2) | instid1(VALU_DEP_2)
	v_mul_f32_e32 v15, 0x4f800000, v14
	v_cmp_gt_f32_e32 vcc_lo, 0xf800000, v14
	s_wait_alu 0xfffd
	v_cndmask_b32_e32 v14, v14, v15, vcc_lo
	s_delay_alu instid0(VALU_DEP_1) | instskip(NEXT) | instid1(TRANS32_DEP_1)
	v_sqrt_f32_e32 v15, v14
	v_add_nc_u32_e32 v16, -1, v15
	v_add_nc_u32_e32 v17, 1, v15
	s_delay_alu instid0(VALU_DEP_2) | instskip(NEXT) | instid1(VALU_DEP_2)
	v_fma_f32 v18, -v16, v15, v14
	v_fma_f32 v19, -v17, v15, v14
	s_delay_alu instid0(VALU_DEP_2) | instskip(SKIP_1) | instid1(VALU_DEP_1)
	v_cmp_ge_f32_e64 s0, 0, v18
	s_wait_alu 0xf1ff
	v_cndmask_b32_e64 v15, v15, v16, s0
	s_delay_alu instid0(VALU_DEP_3) | instskip(SKIP_1) | instid1(VALU_DEP_1)
	v_cmp_lt_f32_e64 s0, 0, v19
	s_wait_alu 0xf1ff
	v_cndmask_b32_e64 v15, v15, v17, s0
	s_delay_alu instid0(VALU_DEP_1) | instskip(NEXT) | instid1(VALU_DEP_1)
	v_mul_f32_e32 v16, 0x37800000, v15
	v_cndmask_b32_e32 v15, v15, v16, vcc_lo
	v_cmp_class_f32_e64 vcc_lo, v14, 0x260
	s_wait_alu 0xfffd
	s_delay_alu instid0(VALU_DEP_2) | instskip(NEXT) | instid1(VALU_DEP_1)
	v_cndmask_b32_e32 v14, v15, v14, vcc_lo
	v_mul_f32_e32 v15, v11, v14
.LBB8_10:                               ;   in Loop: Header=BB8_4 Depth=1
	s_or_b32 exec_lo, exec_lo, s24
	s_delay_alu instid0(VALU_DEP_1)
	v_mul_f32_e32 v11, 0x4f800000, v15
	v_cmp_gt_f32_e32 vcc_lo, 0xf800000, v15
	v_dual_mul_f32 v36, 0x80000000, v35 :: v_dual_mul_f32 v39, 0x80000000, v30
	v_mul_f32_e32 v38, 0x80000000, v31
	v_ashrrev_i32_e32 v27, 31, v26
	s_wait_alu 0xfffd
	v_cndmask_b32_e32 v11, v15, v11, vcc_lo
	v_ashrrev_i32_e32 v29, 31, v28
	v_mul_f32_e32 v37, 0x80000000, v34
	v_lshlrev_b64_e32 v[62:63], 3, v[26:27]
	s_delay_alu instid0(VALU_DEP_4) | instskip(NEXT) | instid1(VALU_DEP_3)
	v_sqrt_f32_e32 v14, v11
	v_lshlrev_b64_e32 v[26:27], 3, v[28:29]
	s_delay_alu instid0(TRANS32_DEP_1) | instskip(SKIP_1) | instid1(VALU_DEP_2)
	v_add_nc_u32_e32 v15, -1, v14
	v_add_nc_u32_e32 v16, 1, v14
	v_fma_f32 v17, -v15, v14, v11
	s_delay_alu instid0(VALU_DEP_2) | instskip(NEXT) | instid1(VALU_DEP_2)
	v_fma_f32 v18, -v16, v14, v11
	v_cmp_ge_f32_e64 s0, 0, v17
	s_wait_alu 0xf1ff
	s_delay_alu instid0(VALU_DEP_1) | instskip(NEXT) | instid1(VALU_DEP_3)
	v_cndmask_b32_e64 v14, v14, v15, s0
	v_cmp_lt_f32_e64 s0, 0, v18
	s_wait_alu 0xf1ff
	s_delay_alu instid0(VALU_DEP_1) | instskip(SKIP_3) | instid1(VALU_DEP_3)
	v_cndmask_b32_e64 v14, v14, v16, s0
	v_add_co_u32 v64, s0, s2, v12
	s_wait_alu 0xf1ff
	v_add_co_ci_u32_e64 v65, null, s3, v13, s0
	v_mul_f32_e32 v15, 0x37800000, v14
	v_add_co_u32 v20, s0, s6, v62
	s_wait_alu 0xf1ff
	v_add_co_ci_u32_e64 v21, null, s7, v63, s0
	s_delay_alu instid0(VALU_DEP_3)
	v_cndmask_b32_e32 v14, v14, v15, vcc_lo
	v_cmp_class_f32_e64 vcc_lo, v11, 0x260
	global_load_b64 v[68:69], v[64:65], off
	s_wait_alu 0xfffd
	v_cndmask_b32_e32 v32, v14, v11, vcc_lo
	v_add_co_u32 v9, vcc_lo, s2, v9
	s_wait_alu 0xfffd
	v_add_co_ci_u32_e64 v10, null, s3, v10, vcc_lo
	s_delay_alu instid0(VALU_DEP_3)
	v_fma_f32 v33, v32, v32, 0
	v_add_nc_u32_e32 v11, s17, v28
	v_fma_f32 v28, -v31, v32, v39
	v_fmac_f32_e32 v36, v34, v32
	v_fmac_f32_e32 v38, v30, v32
	v_div_scale_f32 v14, null, v33, v33, 1.0
	v_div_scale_f32 v18, vcc_lo, 1.0, v33, 1.0
	v_ashrrev_i32_e32 v12, 31, v11
	s_delay_alu instid0(VALU_DEP_3) | instskip(SKIP_2) | instid1(VALU_DEP_1)
	v_rcp_f32_e32 v15, v14
	global_load_b64 v[66:67], v[9:10], off
	v_fma_f32 v16, -v14, v15, 1.0
	v_fmac_f32_e32 v15, v16, v15
	v_lshlrev_b64_e32 v[16:17], 3, v[11:12]
	s_delay_alu instid0(VALU_DEP_2) | instskip(NEXT) | instid1(VALU_DEP_1)
	v_mul_f32_e32 v13, v18, v15
	v_fma_f32 v19, -v14, v13, v18
	s_delay_alu instid0(VALU_DEP_1) | instskip(NEXT) | instid1(VALU_DEP_1)
	v_fmac_f32_e32 v13, v19, v15
	v_fma_f32 v12, -v14, v13, v18
	v_add_co_u32 v18, s0, s8, v62
	s_wait_alu 0xf1ff
	v_add_co_ci_u32_e64 v19, null, s9, v63, s0
	s_wait_alu 0xfffd
	v_div_fmas_f32 v12, v12, v15, v13
	v_add_co_u32 v14, vcc_lo, s10, v62
	s_wait_alu 0xfffd
	v_add_co_ci_u32_e64 v15, null, s11, v63, vcc_lo
	s_delay_alu instid0(VALU_DEP_3)
	v_div_fixup_f32 v29, v12, v33, 1.0
	v_fma_f32 v33, -v35, v32, v37
	v_add_co_u32 v12, vcc_lo, s12, v26
	s_wait_alu 0xfffd
	v_add_co_ci_u32_e64 v13, null, s13, v27, vcc_lo
	v_mul_f32_e32 v70, v28, v29
	v_mul_f32_e32 v72, v33, v29
	;; [unrolled: 1-line block ×4, first 2 shown]
	v_add_co_u32 v16, vcc_lo, s12, v16
	s_wait_loadcnt 0x4
	v_mul_f32_e64 v74, v70, -v59
	v_mul_f32_e64 v75, v60, -v72
	;; [unrolled: 1-line block ×3, first 2 shown]
	v_mul_f32_e32 v40, v72, v61
	v_mul_f32_e32 v76, v72, v59
	s_delay_alu instid0(VALU_DEP_4)
	v_dual_fmac_f32 v74, v58, v73 :: v_dual_fmac_f32 v75, v61, v71
	v_mul_f32_e64 v32, v70, -v49
	s_wait_loadcnt 0x2
	v_dual_mul_f32 v41, v70, v48 :: v_dual_mul_f32 v28, v72, v57
	v_mul_f32_e32 v37, v70, v60
	v_dual_mul_f32 v33, v70, v58 :: v_dual_fmac_f32 v36, v60, v73
	v_dual_mul_f32 v39, v70, v56 :: v_dual_fmac_f32 v40, v60, v71
	v_fma_f32 v60, -v55, v73, v75
	v_fmac_f32_e32 v32, v48, v73
	v_mul_f32_e64 v38, v70, -v57
	v_mul_f32_e64 v77, v58, -v72
	;; [unrolled: 1-line block ×3, first 2 shown]
	v_dual_fmac_f32 v60, v54, v70 :: v_dual_fmac_f32 v41, v49, v73
	v_dual_fmac_f32 v76, v58, v71 :: v_dual_fmac_f32 v37, v61, v73
	v_fmac_f32_e32 v32, v46, v71
	v_fma_f32 v58, -v54, v73, v40
	s_delay_alu instid0(VALU_DEP_4) | instskip(SKIP_1) | instid1(VALU_DEP_4)
	v_dual_fmac_f32 v41, v47, v71 :: v_dual_fmac_f32 v38, v56, v73
	v_dual_fmac_f32 v33, v59, v73 :: v_dual_fmac_f32 v28, v56, v71
	v_fma_f32 v40, -v47, v72, v32
	s_delay_alu instid0(VALU_DEP_3)
	v_dual_fmac_f32 v41, v46, v72 :: v_dual_fmac_f32 v74, v44, v71
	v_fmac_f32_e32 v77, v59, v71
	v_fma_f32 v59, v55, -v70, v58
	s_clause 0x1
	global_store_b64 v[2:3], v[40:41], off
	global_store_b64 v[42:43], v[59:60], off
	global_load_b64 v[42:43], v[20:21], off
	v_dual_fmac_f32 v39, v57, v73 :: v_dual_fmac_f32 v36, v54, v71
	v_fmac_f32_e32 v37, v55, v71
	v_fmac_f32_e32 v29, v57, v71
	v_fma_f32 v57, -v44, v73, v76
	v_fma_f32 v56, -v45, v73, v77
	v_fmac_f32_e32 v33, v45, v71
	s_wait_alu 0xfffd
	v_add_co_ci_u32_e64 v17, null, s13, v17, vcc_lo
	v_fma_f32 v36, -v55, v72, v36
	v_fmac_f32_e32 v37, v54, v72
	v_fma_f32 v55, v45, -v70, v57
	v_fmac_f32_e32 v56, v44, v70
	v_fma_f32 v32, -v45, v72, v74
	v_fmac_f32_e32 v33, v44, v72
	global_store_b64 v[16:17], v[38:39], off
	global_load_b64 v[44:45], v[12:13], off
	s_clause 0x1
	global_store_b64 v[4:5], v[36:37], off
	global_store_b64 v[50:51], v[55:56], off
	s_clause 0x1
	global_store_b64 v[6:7], v[32:33], off
	global_store_b64 v[52:53], v[28:29], off
	global_load_b64 v[52:53], v[18:19], off
	global_load_b64 v[50:51], v[14:15], off
	v_mul_f32_e32 v55, v70, v30
	v_mul_f32_e64 v28, v70, -v31
	v_mul_f32_e32 v29, v72, v49
	s_mov_b32 s0, exec_lo
	s_delay_alu instid0(VALU_DEP_2) | instskip(SKIP_1) | instid1(VALU_DEP_3)
	v_fmac_f32_e32 v28, v30, v73
	v_mul_f32_e64 v30, v48, -v72
	v_fmac_f32_e32 v29, v48, v71
	s_delay_alu instid0(VALU_DEP_3) | instskip(NEXT) | instid1(VALU_DEP_3)
	v_fmac_f32_e32 v28, v34, v71
	v_fmac_f32_e32 v30, v49, v71
	s_delay_alu instid0(VALU_DEP_3) | instskip(NEXT) | instid1(VALU_DEP_3)
	v_fma_f32 v29, -v46, v73, v29
	v_fma_f32 v54, -v35, v72, v28
	s_wait_loadcnt 0x5
	v_mul_f32_e64 v48, -v72, v68
	v_fmac_f32_e32 v55, v31, v73
	v_mul_f32_e64 v31, v70, -v69
	s_delay_alu instid0(VALU_DEP_3) | instskip(NEXT) | instid1(VALU_DEP_3)
	v_fmac_f32_e32 v48, v69, v71
	v_fmac_f32_e32 v55, v35, v71
	v_fma_f32 v35, -v47, v73, v30
	s_delay_alu instid0(VALU_DEP_4) | instskip(NEXT) | instid1(VALU_DEP_3)
	v_fmac_f32_e32 v31, v68, v73
	v_fmac_f32_e32 v55, v34, v72
	v_fma_f32 v34, v47, -v70, v29
	v_mul_f32_e32 v47, v70, v68
	v_dual_fmac_f32 v35, v46, v70 :: v_dual_mul_f32 v46, v72, v69
	s_delay_alu instid0(VALU_DEP_2) | instskip(NEXT) | instid1(VALU_DEP_2)
	v_dual_mul_f32 v28, v55, v55 :: v_dual_fmac_f32 v47, v69, v73
	v_fmac_f32_e32 v46, v68, v71
	s_wait_loadcnt 0x4
	v_fmac_f32_e32 v31, v66, v71
	v_fma_f32 v49, -v67, v73, v48
	v_dual_fmac_f32 v28, v54, v54 :: v_dual_fmac_f32 v47, v67, v71
	v_fma_f32 v56, -v66, v73, v46
	s_delay_alu instid0(VALU_DEP_4) | instskip(NEXT) | instid1(VALU_DEP_4)
	v_fma_f32 v46, -v67, v72, v31
	v_fmac_f32_e32 v49, v66, v70
	s_delay_alu instid0(VALU_DEP_4) | instskip(NEXT) | instid1(VALU_DEP_4)
	v_fmac_f32_e32 v47, v66, v72
	v_fma_f32 v48, v67, -v70, v56
	s_wait_loadcnt 0x3
	v_fmac_f32_e32 v28, v42, v42
	s_delay_alu instid0(VALU_DEP_1)
	v_fmac_f32_e32 v28, v43, v43
	v_mul_f32_e64 v29, v54, -v55
	s_clause 0x1
	global_store_b64 v[22:23], v[54:55], off
	global_store_b64 v[24:25], v[34:35], off
	s_clause 0x1
	global_store_b64 v[9:10], v[46:47], off
	global_store_b64 v[64:65], v[48:49], off
                                        ; implicit-def: $vgpr22
	v_fmac_f32_e32 v29, v55, v54
	s_delay_alu instid0(VALU_DEP_1) | instskip(NEXT) | instid1(VALU_DEP_1)
	v_fmac_f32_e32 v29, v43, v42
	v_fma_f32 v30, v42, -v43, v29
	s_delay_alu instid0(VALU_DEP_1) | instskip(SKIP_2) | instid1(VALU_DEP_1)
	v_cmp_gt_f32_e32 vcc_lo, 0, v30
	s_wait_alu 0xfffd
	v_cndmask_b32_e64 v29, v30, -v30, vcc_lo
	v_cmpx_ngt_f32_e32 v28, v29
	s_wait_alu 0xfffe
	s_xor_b32 s24, exec_lo, s0
	s_cbranch_execz .LBB8_14
; %bb.11:                               ;   in Loop: Header=BB8_4 Depth=1
	v_mov_b32_e32 v22, 0
	s_mov_b32 s25, exec_lo
	v_cmpx_neq_f32_e32 0, v30
	s_cbranch_execz .LBB8_13
; %bb.12:                               ;   in Loop: Header=BB8_4 Depth=1
	v_div_scale_f32 v22, null, v29, v29, v28
	v_div_scale_f32 v25, vcc_lo, v28, v29, v28
	s_delay_alu instid0(VALU_DEP_2) | instskip(NEXT) | instid1(TRANS32_DEP_1)
	v_rcp_f32_e32 v23, v22
	v_fma_f32 v24, -v22, v23, 1.0
	s_delay_alu instid0(VALU_DEP_1) | instskip(NEXT) | instid1(VALU_DEP_1)
	v_fmac_f32_e32 v23, v24, v23
	v_mul_f32_e32 v24, v25, v23
	s_delay_alu instid0(VALU_DEP_1) | instskip(NEXT) | instid1(VALU_DEP_1)
	v_fma_f32 v30, -v22, v24, v25
	v_fmac_f32_e32 v24, v30, v23
	s_delay_alu instid0(VALU_DEP_1) | instskip(SKIP_1) | instid1(VALU_DEP_1)
	v_fma_f32 v22, -v22, v24, v25
	s_wait_alu 0xfffd
	v_div_fmas_f32 v22, v22, v23, v24
	s_delay_alu instid0(VALU_DEP_1) | instskip(NEXT) | instid1(VALU_DEP_1)
	v_div_fixup_f32 v22, v22, v29, v28
	v_fma_f32 v22, v22, v22, 1.0
	s_delay_alu instid0(VALU_DEP_1) | instskip(SKIP_2) | instid1(VALU_DEP_2)
	v_mul_f32_e32 v23, 0x4f800000, v22
	v_cmp_gt_f32_e32 vcc_lo, 0xf800000, v22
	s_wait_alu 0xfffd
	v_cndmask_b32_e32 v22, v22, v23, vcc_lo
	s_delay_alu instid0(VALU_DEP_1) | instskip(NEXT) | instid1(TRANS32_DEP_1)
	v_sqrt_f32_e32 v23, v22
	v_add_nc_u32_e32 v24, -1, v23
	v_add_nc_u32_e32 v25, 1, v23
	s_delay_alu instid0(VALU_DEP_2) | instskip(NEXT) | instid1(VALU_DEP_2)
	v_fma_f32 v28, -v24, v23, v22
	v_fma_f32 v30, -v25, v23, v22
	s_delay_alu instid0(VALU_DEP_2) | instskip(SKIP_1) | instid1(VALU_DEP_1)
	v_cmp_ge_f32_e64 s0, 0, v28
	s_wait_alu 0xf1ff
	v_cndmask_b32_e64 v23, v23, v24, s0
	s_delay_alu instid0(VALU_DEP_3) | instskip(SKIP_1) | instid1(VALU_DEP_1)
	v_cmp_lt_f32_e64 s0, 0, v30
	s_wait_alu 0xf1ff
	v_cndmask_b32_e64 v23, v23, v25, s0
	s_delay_alu instid0(VALU_DEP_1) | instskip(NEXT) | instid1(VALU_DEP_1)
	v_mul_f32_e32 v24, 0x37800000, v23
	v_cndmask_b32_e32 v23, v23, v24, vcc_lo
	v_cmp_class_f32_e64 vcc_lo, v22, 0x260
	s_wait_alu 0xfffd
	s_delay_alu instid0(VALU_DEP_2) | instskip(NEXT) | instid1(VALU_DEP_1)
	v_cndmask_b32_e32 v22, v23, v22, vcc_lo
	v_mul_f32_e32 v22, v29, v22
.LBB8_13:                               ;   in Loop: Header=BB8_4 Depth=1
	s_or_b32 exec_lo, exec_lo, s25
                                        ; implicit-def: $vgpr28
                                        ; implicit-def: $vgpr29
.LBB8_14:                               ;   in Loop: Header=BB8_4 Depth=1
	s_and_not1_saveexec_b32 s24, s24
	s_cbranch_execz .LBB8_3
; %bb.15:                               ;   in Loop: Header=BB8_4 Depth=1
	v_div_scale_f32 v22, null, v28, v28, v29
	v_div_scale_f32 v25, vcc_lo, v29, v28, v29
	s_delay_alu instid0(VALU_DEP_2) | instskip(NEXT) | instid1(TRANS32_DEP_1)
	v_rcp_f32_e32 v23, v22
	v_fma_f32 v24, -v22, v23, 1.0
	s_delay_alu instid0(VALU_DEP_1) | instskip(NEXT) | instid1(VALU_DEP_1)
	v_fmac_f32_e32 v23, v24, v23
	v_mul_f32_e32 v24, v25, v23
	s_delay_alu instid0(VALU_DEP_1) | instskip(NEXT) | instid1(VALU_DEP_1)
	v_fma_f32 v30, -v22, v24, v25
	v_fmac_f32_e32 v24, v30, v23
	s_delay_alu instid0(VALU_DEP_1) | instskip(SKIP_1) | instid1(VALU_DEP_1)
	v_fma_f32 v22, -v22, v24, v25
	s_wait_alu 0xfffd
	v_div_fmas_f32 v22, v22, v23, v24
	s_delay_alu instid0(VALU_DEP_1) | instskip(NEXT) | instid1(VALU_DEP_1)
	v_div_fixup_f32 v22, v22, v28, v29
	v_fma_f32 v22, v22, v22, 1.0
	s_delay_alu instid0(VALU_DEP_1) | instskip(SKIP_2) | instid1(VALU_DEP_2)
	v_mul_f32_e32 v23, 0x4f800000, v22
	v_cmp_gt_f32_e32 vcc_lo, 0xf800000, v22
	s_wait_alu 0xfffd
	v_cndmask_b32_e32 v22, v22, v23, vcc_lo
	s_delay_alu instid0(VALU_DEP_1) | instskip(NEXT) | instid1(TRANS32_DEP_1)
	v_sqrt_f32_e32 v23, v22
	v_add_nc_u32_e32 v24, -1, v23
	v_add_nc_u32_e32 v25, 1, v23
	s_delay_alu instid0(VALU_DEP_2) | instskip(NEXT) | instid1(VALU_DEP_2)
	v_fma_f32 v29, -v24, v23, v22
	v_fma_f32 v30, -v25, v23, v22
	s_delay_alu instid0(VALU_DEP_2) | instskip(SKIP_1) | instid1(VALU_DEP_1)
	v_cmp_ge_f32_e64 s0, 0, v29
	s_wait_alu 0xf1ff
	v_cndmask_b32_e64 v23, v23, v24, s0
	s_delay_alu instid0(VALU_DEP_3) | instskip(SKIP_1) | instid1(VALU_DEP_1)
	v_cmp_lt_f32_e64 s0, 0, v30
	s_wait_alu 0xf1ff
	v_cndmask_b32_e64 v23, v23, v25, s0
	s_delay_alu instid0(VALU_DEP_1) | instskip(NEXT) | instid1(VALU_DEP_1)
	v_mul_f32_e32 v24, 0x37800000, v23
	v_cndmask_b32_e32 v23, v23, v24, vcc_lo
	v_cmp_class_f32_e64 vcc_lo, v22, 0x260
	s_wait_alu 0xfffd
	s_delay_alu instid0(VALU_DEP_2) | instskip(NEXT) | instid1(VALU_DEP_1)
	v_cndmask_b32_e32 v22, v23, v22, vcc_lo
	v_mul_f32_e32 v22, v28, v22
	s_branch .LBB8_3
.LBB8_16:
	s_add_co_i32 s0, s16, -1
	s_wait_alu 0xfffe
	s_mul_i32 s1, s18, s0
	s_mov_b32 s0, exec_lo
	s_wait_alu 0xfffe
	v_add_nc_u32_e32 v2, s1, v1
	s_sub_co_i32 s20, s1, s18
	s_wait_alu 0xfffe
	v_add_nc_u32_e32 v4, s20, v1
	s_delay_alu instid0(VALU_DEP_2) | instskip(NEXT) | instid1(VALU_DEP_2)
	v_ashrrev_i32_e32 v3, 31, v2
	v_ashrrev_i32_e32 v5, 31, v4
	s_delay_alu instid0(VALU_DEP_2) | instskip(NEXT) | instid1(VALU_DEP_2)
	v_lshlrev_b64_e32 v[42:43], 3, v[2:3]
	v_lshlrev_b64_e32 v[40:41], 3, v[4:5]
	s_wait_kmcnt 0x0
	s_delay_alu instid0(VALU_DEP_2) | instskip(SKIP_1) | instid1(VALU_DEP_3)
	v_add_co_u32 v2, vcc_lo, s4, v42
	s_wait_alu 0xfffd
	v_add_co_ci_u32_e64 v3, null, s5, v43, vcc_lo
	s_delay_alu instid0(VALU_DEP_3)
	v_add_co_u32 v24, vcc_lo, s6, v40
	s_wait_alu 0xfffd
	v_add_co_ci_u32_e64 v25, null, s7, v41, vcc_lo
	v_add_co_u32 v32, vcc_lo, s6, v42
	s_wait_alu 0xfffd
	v_add_co_ci_u32_e64 v33, null, s7, v43, vcc_lo
	v_mad_co_u64_u32 v[4:5], null, s17, s22, v[1:2]
	global_load_b64 v[38:39], v[2:3], off
	s_clause 0x1
	global_load_b64 v[36:37], v[24:25], off
	global_load_b64 v[30:31], v[32:33], off
	v_add_co_u32 v26, vcc_lo, s8, v40
	s_wait_alu 0xfffd
	v_add_co_ci_u32_e64 v27, null, s9, v41, vcc_lo
	v_add_co_u32 v28, vcc_lo, s8, v42
	v_add_nc_u32_e32 v14, s17, v4
	v_ashrrev_i32_e32 v5, 31, v4
	s_wait_alu 0xfffd
	v_add_co_ci_u32_e64 v29, null, s9, v43, vcc_lo
	v_add_co_u32 v16, vcc_lo, s10, v40
	v_ashrrev_i32_e32 v15, 31, v14
	v_lshlrev_b64_e32 v[2:3], 3, v[4:5]
	s_wait_alu 0xfffd
	v_add_co_ci_u32_e64 v17, null, s11, v41, vcc_lo
	v_add_co_u32 v18, vcc_lo, s10, v42
	v_lshlrev_b64_e32 v[4:5], 3, v[14:15]
	s_wait_alu 0xfffd
	v_add_co_ci_u32_e64 v19, null, s11, v43, vcc_lo
	v_add_co_u32 v8, vcc_lo, s12, v2
	s_wait_alu 0xfffd
	v_add_co_ci_u32_e64 v9, null, s13, v3, vcc_lo
	v_add_co_u32 v6, vcc_lo, s12, v4
	s_wait_alu 0xfffd
	v_add_co_ci_u32_e64 v7, null, s13, v5, vcc_lo
	s_clause 0x1
	global_load_b64 v[34:35], v[26:27], off
	global_load_b64 v[22:23], v[28:29], off
	s_clause 0x1
	global_load_b64 v[20:21], v[16:17], off
	global_load_b64 v[12:13], v[18:19], off
	;; [unrolled: 3-line block ×3, first 2 shown]
	s_wait_loadcnt 0x8
	v_mul_f32_e64 v15, v38, -v39
	v_mul_f32_e32 v44, v39, v39
	s_delay_alu instid0(VALU_DEP_2) | instskip(SKIP_1) | instid1(VALU_DEP_1)
	v_fmac_f32_e32 v15, v39, v38
	s_wait_loadcnt 0x7
	v_dual_fmac_f32 v44, v38, v38 :: v_dual_fmac_f32 v15, v37, v36
	s_delay_alu instid0(VALU_DEP_1) | instskip(NEXT) | instid1(VALU_DEP_2)
	v_fmac_f32_e32 v44, v36, v36
	v_fma_f32 v46, v36, -v37, v15
	s_delay_alu instid0(VALU_DEP_2) | instskip(NEXT) | instid1(VALU_DEP_2)
	v_fmac_f32_e32 v44, v37, v37
                                        ; implicit-def: $vgpr15
	v_cmp_gt_f32_e32 vcc_lo, 0, v46
	s_wait_alu 0xfffd
	v_cndmask_b32_e64 v45, v46, -v46, vcc_lo
	s_delay_alu instid0(VALU_DEP_1)
	v_cmpx_ngt_f32_e32 v44, v45
	s_xor_b32 s4, exec_lo, s0
	s_cbranch_execz .LBB8_20
; %bb.17:
	v_mov_b32_e32 v15, 0
	s_mov_b32 s5, exec_lo
	v_cmpx_neq_f32_e32 0, v46
	s_cbranch_execz .LBB8_19
; %bb.18:
	v_div_scale_f32 v15, null, v45, v45, v44
	v_div_scale_f32 v48, vcc_lo, v44, v45, v44
	s_delay_alu instid0(VALU_DEP_2) | instskip(NEXT) | instid1(TRANS32_DEP_1)
	v_rcp_f32_e32 v46, v15
	v_fma_f32 v47, -v15, v46, 1.0
	s_delay_alu instid0(VALU_DEP_1) | instskip(NEXT) | instid1(VALU_DEP_1)
	v_fmac_f32_e32 v46, v47, v46
	v_mul_f32_e32 v47, v48, v46
	s_delay_alu instid0(VALU_DEP_1) | instskip(NEXT) | instid1(VALU_DEP_1)
	v_fma_f32 v49, -v15, v47, v48
	v_fmac_f32_e32 v47, v49, v46
	s_delay_alu instid0(VALU_DEP_1) | instskip(SKIP_1) | instid1(VALU_DEP_1)
	v_fma_f32 v15, -v15, v47, v48
	s_wait_alu 0xfffd
	v_div_fmas_f32 v15, v15, v46, v47
	s_delay_alu instid0(VALU_DEP_1) | instskip(NEXT) | instid1(VALU_DEP_1)
	v_div_fixup_f32 v15, v15, v45, v44
	v_fma_f32 v15, v15, v15, 1.0
	s_delay_alu instid0(VALU_DEP_1) | instskip(SKIP_2) | instid1(VALU_DEP_2)
	v_mul_f32_e32 v44, 0x4f800000, v15
	v_cmp_gt_f32_e32 vcc_lo, 0xf800000, v15
	s_wait_alu 0xfffd
	v_cndmask_b32_e32 v15, v15, v44, vcc_lo
	s_delay_alu instid0(VALU_DEP_1) | instskip(NEXT) | instid1(TRANS32_DEP_1)
	v_sqrt_f32_e32 v44, v15
	v_add_nc_u32_e32 v46, -1, v44
	v_add_nc_u32_e32 v47, 1, v44
	s_delay_alu instid0(VALU_DEP_2) | instskip(NEXT) | instid1(VALU_DEP_2)
	v_fma_f32 v48, -v46, v44, v15
	v_fma_f32 v49, -v47, v44, v15
	s_delay_alu instid0(VALU_DEP_2) | instskip(SKIP_1) | instid1(VALU_DEP_1)
	v_cmp_ge_f32_e64 s0, 0, v48
	s_wait_alu 0xf1ff
	v_cndmask_b32_e64 v44, v44, v46, s0
	s_delay_alu instid0(VALU_DEP_3) | instskip(SKIP_1) | instid1(VALU_DEP_1)
	v_cmp_lt_f32_e64 s0, 0, v49
	s_wait_alu 0xf1ff
	v_cndmask_b32_e64 v44, v44, v47, s0
	s_delay_alu instid0(VALU_DEP_1) | instskip(NEXT) | instid1(VALU_DEP_1)
	v_mul_f32_e32 v46, 0x37800000, v44
	v_cndmask_b32_e32 v44, v44, v46, vcc_lo
	v_cmp_class_f32_e64 vcc_lo, v15, 0x260
	s_wait_alu 0xfffd
	s_delay_alu instid0(VALU_DEP_2) | instskip(NEXT) | instid1(VALU_DEP_1)
	v_cndmask_b32_e32 v15, v44, v15, vcc_lo
	v_mul_f32_e32 v15, v45, v15
.LBB8_19:
	s_wait_alu 0xfffe
	s_or_b32 exec_lo, exec_lo, s5
                                        ; implicit-def: $vgpr44
                                        ; implicit-def: $vgpr45
.LBB8_20:
	s_wait_alu 0xfffe
	s_and_not1_saveexec_b32 s4, s4
	s_cbranch_execz .LBB8_22
; %bb.21:
	v_div_scale_f32 v15, null, v44, v44, v45
	v_div_scale_f32 v48, vcc_lo, v45, v44, v45
	s_delay_alu instid0(VALU_DEP_2) | instskip(NEXT) | instid1(TRANS32_DEP_1)
	v_rcp_f32_e32 v46, v15
	v_fma_f32 v47, -v15, v46, 1.0
	s_delay_alu instid0(VALU_DEP_1) | instskip(NEXT) | instid1(VALU_DEP_1)
	v_fmac_f32_e32 v46, v47, v46
	v_mul_f32_e32 v47, v48, v46
	s_delay_alu instid0(VALU_DEP_1) | instskip(NEXT) | instid1(VALU_DEP_1)
	v_fma_f32 v49, -v15, v47, v48
	v_fmac_f32_e32 v47, v49, v46
	s_delay_alu instid0(VALU_DEP_1) | instskip(SKIP_1) | instid1(VALU_DEP_1)
	v_fma_f32 v15, -v15, v47, v48
	s_wait_alu 0xfffd
	v_div_fmas_f32 v15, v15, v46, v47
	s_delay_alu instid0(VALU_DEP_1) | instskip(NEXT) | instid1(VALU_DEP_1)
	v_div_fixup_f32 v15, v15, v44, v45
	v_fma_f32 v15, v15, v15, 1.0
	s_delay_alu instid0(VALU_DEP_1) | instskip(SKIP_2) | instid1(VALU_DEP_2)
	v_mul_f32_e32 v45, 0x4f800000, v15
	v_cmp_gt_f32_e32 vcc_lo, 0xf800000, v15
	s_wait_alu 0xfffd
	v_cndmask_b32_e32 v15, v15, v45, vcc_lo
	s_delay_alu instid0(VALU_DEP_1) | instskip(NEXT) | instid1(TRANS32_DEP_1)
	v_sqrt_f32_e32 v45, v15
	v_add_nc_u32_e32 v46, -1, v45
	v_add_nc_u32_e32 v47, 1, v45
	s_delay_alu instid0(VALU_DEP_2) | instskip(NEXT) | instid1(VALU_DEP_2)
	v_fma_f32 v48, -v46, v45, v15
	v_fma_f32 v49, -v47, v45, v15
	s_delay_alu instid0(VALU_DEP_2) | instskip(SKIP_1) | instid1(VALU_DEP_1)
	v_cmp_ge_f32_e64 s0, 0, v48
	s_wait_alu 0xf1ff
	v_cndmask_b32_e64 v45, v45, v46, s0
	s_delay_alu instid0(VALU_DEP_3) | instskip(SKIP_1) | instid1(VALU_DEP_1)
	v_cmp_lt_f32_e64 s0, 0, v49
	s_wait_alu 0xf1ff
	v_cndmask_b32_e64 v45, v45, v47, s0
	s_delay_alu instid0(VALU_DEP_1) | instskip(NEXT) | instid1(VALU_DEP_1)
	v_mul_f32_e32 v46, 0x37800000, v45
	v_cndmask_b32_e32 v45, v45, v46, vcc_lo
	v_cmp_class_f32_e64 vcc_lo, v15, 0x260
	s_wait_alu 0xfffd
	s_delay_alu instid0(VALU_DEP_2) | instskip(NEXT) | instid1(VALU_DEP_1)
	v_cndmask_b32_e32 v15, v45, v15, vcc_lo
	v_mul_f32_e32 v15, v44, v15
.LBB8_22:
	s_wait_alu 0xfffe
	s_or_b32 exec_lo, exec_lo, s4
	v_add_co_u32 v42, vcc_lo, s2, v42
	s_wait_alu 0xfffd
	v_add_co_ci_u32_e64 v43, null, s3, v43, vcc_lo
	v_add_co_u32 v40, vcc_lo, s2, v40
	s_wait_alu 0xfffd
	v_add_co_ci_u32_e64 v41, null, s3, v41, vcc_lo
	global_load_b64 v[44:45], v[42:43], off
	v_mul_f32_e32 v48, 0x4f800000, v15
	v_cmp_gt_f32_e32 vcc_lo, 0xf800000, v15
	global_load_b64 v[46:47], v[40:41], off
	s_wait_alu 0xfffd
	v_cndmask_b32_e32 v15, v15, v48, vcc_lo
	s_delay_alu instid0(VALU_DEP_1) | instskip(NEXT) | instid1(TRANS32_DEP_1)
	v_sqrt_f32_e32 v48, v15
	v_add_nc_u32_e32 v49, -1, v48
	v_add_nc_u32_e32 v50, 1, v48
	s_delay_alu instid0(VALU_DEP_2) | instskip(NEXT) | instid1(VALU_DEP_2)
	v_fma_f32 v51, -v49, v48, v15
	v_fma_f32 v52, -v50, v48, v15
	s_delay_alu instid0(VALU_DEP_2) | instskip(SKIP_1) | instid1(VALU_DEP_1)
	v_cmp_ge_f32_e64 s0, 0, v51
	s_wait_alu 0xf1ff
	v_cndmask_b32_e64 v48, v48, v49, s0
	s_delay_alu instid0(VALU_DEP_3) | instskip(SKIP_1) | instid1(VALU_DEP_1)
	v_cmp_lt_f32_e64 s0, 0, v52
	s_wait_alu 0xf1ff
	v_cndmask_b32_e64 v48, v48, v50, s0
	s_sub_co_i32 s0, s20, s18
	s_delay_alu instid0(VALU_DEP_1) | instskip(NEXT) | instid1(VALU_DEP_1)
	v_mul_f32_e32 v49, 0x37800000, v48
	v_cndmask_b32_e32 v48, v48, v49, vcc_lo
	v_cmp_class_f32_e64 vcc_lo, v15, 0x260
	s_wait_alu 0xfffd
	s_delay_alu instid0(VALU_DEP_2) | instskip(NEXT) | instid1(VALU_DEP_1)
	v_cndmask_b32_e32 v15, v48, v15, vcc_lo
	v_fma_f32 v48, v15, v15, 0
	s_delay_alu instid0(VALU_DEP_1) | instskip(SKIP_1) | instid1(VALU_DEP_2)
	v_div_scale_f32 v49, null, v48, v48, 1.0
	v_div_scale_f32 v52, vcc_lo, 1.0, v48, 1.0
	v_rcp_f32_e32 v50, v49
	s_delay_alu instid0(TRANS32_DEP_1) | instskip(NEXT) | instid1(VALU_DEP_1)
	v_fma_f32 v51, -v49, v50, 1.0
	v_fmac_f32_e32 v50, v51, v50
	s_delay_alu instid0(VALU_DEP_1) | instskip(NEXT) | instid1(VALU_DEP_1)
	v_mul_f32_e32 v51, v52, v50
	v_fma_f32 v53, -v49, v51, v52
	s_delay_alu instid0(VALU_DEP_1) | instskip(NEXT) | instid1(VALU_DEP_1)
	v_fmac_f32_e32 v51, v53, v50
	v_fma_f32 v49, -v49, v51, v52
	v_mul_f32_e32 v52, 0x80000000, v38
	s_wait_alu 0xfffd
	s_delay_alu instid0(VALU_DEP_2) | instskip(SKIP_1) | instid1(VALU_DEP_3)
	v_div_fmas_f32 v49, v49, v50, v51
	v_dual_mul_f32 v50, 0x80000000, v37 :: v_dual_mul_f32 v51, 0x80000000, v36
	v_fma_f32 v52, -v39, v15, v52
	s_delay_alu instid0(VALU_DEP_3) | instskip(NEXT) | instid1(VALU_DEP_3)
	v_div_fixup_f32 v48, v49, v48, 1.0
	v_fmac_f32_e32 v50, v36, v15
	s_delay_alu instid0(VALU_DEP_4) | instskip(NEXT) | instid1(VALU_DEP_2)
	v_fma_f32 v49, -v37, v15, v51
	v_dual_mul_f32 v53, 0x80000000, v39 :: v_dual_mul_f32 v50, v50, v48
	v_mul_f32_e32 v51, v52, v48
	s_delay_alu instid0(VALU_DEP_2) | instskip(NEXT) | instid1(VALU_DEP_1)
	v_dual_mul_f32 v52, v49, v48 :: v_dual_fmac_f32 v53, v38, v15
	v_mul_f32_e32 v53, v53, v48
	s_wait_loadcnt 0x1
	s_delay_alu instid0(VALU_DEP_2) | instskip(SKIP_1) | instid1(VALU_DEP_2)
	v_mul_f32_e64 v54, -v52, v44
	v_mul_f32_e32 v48, v52, v45
	v_fmac_f32_e32 v54, v45, v50
	v_mul_f32_e64 v15, v51, -v45
	v_mul_f32_e32 v49, v51, v44
	s_delay_alu instid0(VALU_DEP_2) | instskip(NEXT) | instid1(VALU_DEP_2)
	v_fmac_f32_e32 v15, v44, v53
	v_dual_fmac_f32 v48, v44, v50 :: v_dual_fmac_f32 v49, v45, v53
	s_wait_loadcnt 0x0
	v_fma_f32 v45, -v47, v53, v54
	v_mul_f32_e64 v54, v12, -v52
	v_fmac_f32_e32 v15, v46, v50
	v_fma_f32 v44, -v46, v53, v48
	v_fmac_f32_e32 v49, v47, v50
	s_delay_alu instid0(VALU_DEP_4) | instskip(NEXT) | instid1(VALU_DEP_4)
	v_dual_fmac_f32 v45, v46, v51 :: v_dual_fmac_f32 v54, v13, v50
	v_fma_f32 v48, -v47, v52, v15
	s_delay_alu instid0(VALU_DEP_4) | instskip(NEXT) | instid1(VALU_DEP_4)
	v_fma_f32 v44, v47, -v51, v44
	v_fmac_f32_e32 v49, v46, v52
	s_clause 0x1
	global_store_b64 v[40:41], v[48:49], off
	global_store_b64 v[42:43], v[44:45], off
	global_load_b64 v[44:45], v[42:43], off
	v_mul_f32_e32 v49, v51, v38
	v_mul_f32_e64 v15, v30, -v52
	v_mul_f32_e64 v48, v51, -v39
	s_delay_alu instid0(VALU_DEP_3) | instskip(NEXT) | instid1(VALU_DEP_2)
	v_dual_mul_f32 v46, v52, v31 :: v_dual_fmac_f32 v49, v39, v53
	v_dual_fmac_f32 v15, v31, v50 :: v_dual_fmac_f32 v48, v38, v53
	s_delay_alu instid0(VALU_DEP_2) | instskip(SKIP_1) | instid1(VALU_DEP_4)
	v_fmac_f32_e32 v46, v30, v50
	v_mul_f32_e64 v39, v51, -v31
	v_fmac_f32_e32 v49, v37, v50
	s_delay_alu instid0(VALU_DEP_2) | instskip(NEXT) | instid1(VALU_DEP_2)
	v_dual_fmac_f32 v48, v36, v50 :: v_dual_fmac_f32 v39, v30, v53
	v_fmac_f32_e32 v49, v36, v52
	v_mul_f32_e32 v36, v52, v23
	v_fma_f32 v47, -v35, v53, v15
	v_fma_f32 v15, -v34, v53, v46
	;; [unrolled: 1-line block ×3, first 2 shown]
	s_delay_alu instid0(VALU_DEP_4) | instskip(NEXT) | instid1(VALU_DEP_4)
	v_fmac_f32_e32 v36, v22, v50
	v_fmac_f32_e32 v47, v34, v51
	s_delay_alu instid0(VALU_DEP_4)
	v_fma_f32 v46, v35, -v51, v15
	s_clause 0x1
	global_store_b64 v[24:25], v[48:49], off
	global_store_b64 v[32:33], v[46:47], off
	v_mul_f32_e32 v15, v47, v47
	global_load_b64 v[24:25], v[24:25], off
	v_fmac_f32_e32 v39, v34, v50
	v_mul_f32_e64 v49, v22, -v52
	v_fmac_f32_e32 v15, v46, v46
	s_delay_alu instid0(VALU_DEP_2) | instskip(NEXT) | instid1(VALU_DEP_2)
	v_fmac_f32_e32 v49, v23, v50
	v_div_scale_f32 v38, null, v15, v15, 1.0
	v_div_scale_f32 v33, vcc_lo, 1.0, v15, 1.0
	s_delay_alu instid0(VALU_DEP_2) | instskip(NEXT) | instid1(TRANS32_DEP_1)
	v_rcp_f32_e32 v37, v38
	v_fma_f32 v32, -v38, v37, 1.0
	s_delay_alu instid0(VALU_DEP_1) | instskip(NEXT) | instid1(VALU_DEP_1)
	v_dual_fmac_f32 v37, v32, v37 :: v_dual_mul_f32 v32, v51, v30
	v_fmac_f32_e32 v32, v31, v53
	v_fma_f32 v31, -v35, v52, v39
	s_delay_alu instid0(VALU_DEP_2) | instskip(NEXT) | instid1(VALU_DEP_1)
	v_fmac_f32_e32 v32, v35, v50
	v_fmac_f32_e32 v32, v34, v52
	s_wait_loadcnt 0x1
	v_mul_f32_e64 v34, v47, -v44
	s_delay_alu instid0(VALU_DEP_1) | instskip(SKIP_1) | instid1(VALU_DEP_1)
	v_fmac_f32_e32 v34, v45, v46
	v_mul_f32_e32 v48, v33, v37
	v_fma_f32 v30, -v38, v48, v33
	s_delay_alu instid0(VALU_DEP_1) | instskip(SKIP_2) | instid1(VALU_DEP_3)
	v_fmac_f32_e32 v48, v30, v37
	v_fma_f32 v30, -v20, v53, v36
	v_fma_f32 v36, -v21, v53, v49
	;; [unrolled: 1-line block ×3, first 2 shown]
	s_delay_alu instid0(VALU_DEP_3) | instskip(NEXT) | instid1(VALU_DEP_3)
	v_fma_f32 v35, v21, -v51, v30
	v_fmac_f32_e32 v36, v20, v51
	s_clause 0x1
	global_store_b64 v[26:27], v[31:32], off
	global_store_b64 v[28:29], v[35:36], off
	s_wait_alu 0xfffd
	v_div_fmas_f32 v30, v33, v37, v48
	v_mul_f32_e32 v33, v47, v45
	v_mul_f32_e64 v48, v51, -v23
	global_load_b64 v[26:27], v[26:27], off
	s_wait_alu 0xfffe
	v_add_nc_u32_e32 v32, s0, v1
	v_div_fixup_f32 v15, v30, v15, 1.0
	v_dual_fmac_f32 v33, v44, v46 :: v_dual_fmac_f32 v48, v22, v53
	s_sub_co_i32 s0, s0, s18
	s_cmp_lt_i32 s16, 5
	s_delay_alu instid0(VALU_DEP_1)
	v_dual_mul_f32 v29, v34, v15 :: v_dual_mul_f32 v28, v15, v33
	s_wait_loadcnt 0x1
	v_dual_fmac_f32 v48, v20, v50 :: v_dual_mul_f32 v15, v25, v25
	v_ashrrev_i32_e32 v33, 31, v32
	global_store_b64 v[42:43], v[28:29], off
	global_load_b64 v[30:31], v[40:41], off
	v_fmac_f32_e32 v15, v24, v24
	v_lshlrev_b64_e32 v[32:33], 3, v[32:33]
	s_delay_alu instid0(VALU_DEP_2) | instskip(NEXT) | instid1(VALU_DEP_2)
	v_div_scale_f32 v44, null, v15, v15, 1.0
	v_add_co_u32 v34, vcc_lo, s6, v32
	s_wait_alu 0xfffd
	s_delay_alu instid0(VALU_DEP_3) | instskip(NEXT) | instid1(VALU_DEP_3)
	v_add_co_ci_u32_e64 v35, null, s7, v33, vcc_lo
	v_rcp_f32_e32 v46, v44
	v_add_co_u32 v36, vcc_lo, s8, v32
	s_wait_alu 0xfffd
	v_add_co_ci_u32_e64 v37, null, s9, v33, vcc_lo
	v_add_co_u32 v38, vcc_lo, s10, v32
	s_wait_alu 0xfffd
	v_add_co_ci_u32_e64 v39, null, s11, v33, vcc_lo
	global_load_b64 v[34:35], v[34:35], off
	v_fma_f32 v45, -v44, v46, 1.0
	s_delay_alu instid0(VALU_DEP_1) | instskip(SKIP_1) | instid1(VALU_DEP_1)
	v_fmac_f32_e32 v46, v45, v46
	v_mul_f32_e32 v45, v51, v22
	v_fmac_f32_e32 v45, v23, v53
	s_wait_loadcnt 0x2
	v_mul_f32_e32 v23, v29, v26
	v_mul_f32_e64 v29, v29, -v27
	s_delay_alu instid0(VALU_DEP_2) | instskip(NEXT) | instid1(VALU_DEP_2)
	v_fmac_f32_e32 v23, v27, v28
	v_fmac_f32_e32 v29, v26, v28
	s_wait_loadcnt 0x1
	s_delay_alu instid0(VALU_DEP_1) | instskip(SKIP_2) | instid1(VALU_DEP_3)
	v_sub_f32_e32 v28, v30, v29
	v_div_scale_f32 v47, vcc_lo, 1.0, v15, 1.0
	v_sub_f32_e32 v23, v31, v23
	v_mul_f32_e64 v30, v25, -v28
	s_delay_alu instid0(VALU_DEP_3) | instskip(NEXT) | instid1(VALU_DEP_2)
	v_mul_f32_e32 v55, v47, v46
	v_fmac_f32_e32 v30, v23, v24
	s_delay_alu instid0(VALU_DEP_2) | instskip(NEXT) | instid1(VALU_DEP_1)
	v_fma_f32 v22, -v44, v55, v47
	v_fmac_f32_e32 v55, v22, v46
	v_fma_f32 v22, -v11, v53, v54
	s_delay_alu instid0(VALU_DEP_2) | instskip(SKIP_2) | instid1(VALU_DEP_4)
	v_fma_f32 v27, -v44, v55, v47
	v_fma_f32 v44, -v21, v52, v48
	v_mul_f32_e64 v48, v51, -v13
	v_fmac_f32_e32 v22, v10, v51
	s_wait_alu 0xfffd
	v_div_fmas_f32 v27, v27, v46, v55
	s_delay_alu instid0(VALU_DEP_3) | instskip(NEXT) | instid1(VALU_DEP_2)
	v_dual_fmac_f32 v48, v12, v53 :: v_dual_mul_f32 v29, v25, v23
	v_div_fixup_f32 v15, v27, v15, 1.0
	s_delay_alu instid0(VALU_DEP_2) | instskip(NEXT) | instid1(VALU_DEP_3)
	v_dual_mul_f32 v49, v52, v13 :: v_dual_fmac_f32 v48, v10, v50
	v_fmac_f32_e32 v29, v28, v24
	global_load_b64 v[23:24], v[36:37], off
	v_add_co_u32 v27, vcc_lo, s2, v32
	v_fmac_f32_e32 v49, v12, v50
	v_mul_f32_e32 v25, v15, v29
	v_fmac_f32_e32 v45, v21, v50
	s_wait_alu 0xfffd
	v_add_co_ci_u32_e64 v28, null, s3, v33, vcc_lo
	v_fma_f32 v26, -v10, v53, v49
	s_wait_loadcnt 0x1
	v_mul_f32_e32 v33, v35, v35
	s_wait_alu 0xfffe
	v_add_nc_u32_e32 v29, s0, v1
	v_fma_f32 v21, v11, -v51, v26
	v_mul_f32_e32 v26, v15, v30
	v_fmac_f32_e32 v33, v34, v34
	s_delay_alu instid0(VALU_DEP_1) | instskip(NEXT) | instid1(VALU_DEP_1)
	v_div_scale_f32 v1, null, v33, v33, 1.0
	v_rcp_f32_e32 v46, v1
	s_wait_loadcnt 0x0
	v_mul_f32_e64 v54, v26, -v24
	s_delay_alu instid0(VALU_DEP_1)
	v_dual_fmac_f32 v54, v23, v25 :: v_dual_fmac_f32 v45, v20, v52
	s_clause 0x1
	global_store_b64 v[16:17], v[44:45], off
	global_store_b64 v[18:19], v[21:22], off
	global_load_b64 v[15:16], v[38:39], off
	global_store_b64 v[40:41], v[25:26], off
	s_clause 0x1
	global_load_b64 v[17:18], v[42:43], off
	global_load_b64 v[19:20], v[27:28], off
	v_mul_f32_e32 v26, v26, v23
	v_mul_f32_e32 v44, v52, v5
	v_mul_f32_e64 v45, v4, -v52
	s_delay_alu instid0(VALU_DEP_3) | instskip(NEXT) | instid1(VALU_DEP_3)
	v_fmac_f32_e32 v26, v24, v25
	v_fmac_f32_e32 v44, v4, v50
	s_delay_alu instid0(VALU_DEP_3)
	v_fmac_f32_e32 v45, v5, v50
	s_wait_loadcnt 0x2
	v_mad_co_u64_u32 v[21:22], null, s17, -3, v[14:15]
	v_fma_f32 v14, -v1, v46, 1.0
	s_wait_loadcnt 0x1
	v_mul_f32_e32 v23, v18, v15
	v_mul_f32_e64 v18, v18, -v16
	s_wait_loadcnt 0x0
	v_sub_f32_e32 v20, v20, v26
	v_sub_f32_e32 v19, v19, v54
	v_fmac_f32_e32 v46, v14, v46
	v_mul_f32_e32 v14, v51, v12
	v_ashrrev_i32_e32 v22, 31, v21
	v_fmac_f32_e32 v23, v16, v17
	v_fmac_f32_e32 v18, v15, v17
	s_delay_alu instid0(VALU_DEP_4) | instskip(NEXT) | instid1(VALU_DEP_4)
	v_fmac_f32_e32 v14, v13, v53
	v_lshlrev_b64_e32 v[21:22], 3, v[21:22]
	s_delay_alu instid0(VALU_DEP_3) | instskip(NEXT) | instid1(VALU_DEP_3)
	v_dual_sub_f32 v12, v20, v23 :: v_dual_sub_f32 v13, v19, v18
	v_fmac_f32_e32 v14, v11, v50
	s_delay_alu instid0(VALU_DEP_3) | instskip(SKIP_1) | instid1(VALU_DEP_4)
	v_add_co_u32 v21, vcc_lo, s12, v21
	s_wait_alu 0xfffd
	v_add_co_ci_u32_e64 v22, null, s13, v22, vcc_lo
	s_delay_alu instid0(VALU_DEP_3) | instskip(SKIP_3) | instid1(VALU_DEP_3)
	v_fmac_f32_e32 v14, v10, v52
	v_ashrrev_i32_e32 v30, 31, v29
	v_mul_f32_e32 v17, v35, v12
	v_mul_f32_e64 v18, v35, -v13
	v_lshlrev_b64_e32 v[29:30], 3, v[29:30]
	s_delay_alu instid0(VALU_DEP_3) | instskip(SKIP_1) | instid1(VALU_DEP_4)
	v_fmac_f32_e32 v17, v13, v34
	v_fma_f32 v13, -v11, v52, v48
	v_fmac_f32_e32 v18, v12, v34
	s_delay_alu instid0(VALU_DEP_4)
	v_add_co_u32 v31, vcc_lo, s2, v29
	s_wait_alu 0xfffd
	v_add_co_ci_u32_e64 v32, null, s3, v30, vcc_lo
	v_add_co_u32 v36, vcc_lo, s8, v29
	s_wait_alu 0xfffd
	v_add_co_ci_u32_e64 v37, null, s9, v30, vcc_lo
	v_add_co_u32 v38, vcc_lo, s6, v29
	v_add_co_u32 v29, s0, s10, v29
	s_wait_alu 0xfffd
	v_add_co_ci_u32_e64 v39, null, s7, v30, vcc_lo
	v_div_scale_f32 v47, vcc_lo, 1.0, v33, 1.0
	s_wait_alu 0xf1ff
	v_add_co_ci_u32_e64 v30, null, s11, v30, s0
	global_store_b64 v[8:9], v[13:14], off
	global_load_b64 v[38:39], v[38:39], off
	global_load_b64 v[15:16], v[36:37], off
	;; [unrolled: 1-line block ×3, first 2 shown]
	v_mul_f32_e32 v49, v47, v46
	s_delay_alu instid0(VALU_DEP_1) | instskip(NEXT) | instid1(VALU_DEP_1)
	v_fma_f32 v55, -v1, v49, v47
	v_fmac_f32_e32 v49, v55, v46
	s_delay_alu instid0(VALU_DEP_1) | instskip(SKIP_1) | instid1(VALU_DEP_1)
	v_fma_f32 v1, -v1, v49, v47
	s_wait_alu 0xfffd
	v_div_fmas_f32 v1, v1, v46, v49
	s_delay_alu instid0(VALU_DEP_1) | instskip(NEXT) | instid1(VALU_DEP_1)
	v_div_fixup_f32 v1, v1, v33, 1.0
	v_mul_f32_e32 v10, v1, v17
	v_mul_f32_e32 v11, v1, v18
	global_store_b64 v[27:28], v[10:11], off
	s_clause 0x1
	global_load_b64 v[12:13], v[31:32], off
	global_load_b64 v[17:18], v[40:41], off
	global_store_b64 v[6:7], v[44:45], off
	global_load_b64 v[6:7], v[21:22], off
	global_load_b64 v[19:20], v[42:43], off
	s_wait_loadcnt 0x6
	v_mul_f32_e32 v1, v39, v39
	s_delay_alu instid0(VALU_DEP_1) | instskip(NEXT) | instid1(VALU_DEP_1)
	v_fmac_f32_e32 v1, v38, v38
	v_div_scale_f32 v14, null, v1, v1, 1.0
	v_div_scale_f32 v23, vcc_lo, 1.0, v1, 1.0
	s_delay_alu instid0(VALU_DEP_2) | instskip(NEXT) | instid1(TRANS32_DEP_1)
	v_rcp_f32_e32 v21, v14
	v_fma_f32 v22, -v14, v21, 1.0
	s_delay_alu instid0(VALU_DEP_1) | instskip(SKIP_3) | instid1(VALU_DEP_3)
	v_fmac_f32_e32 v21, v22, v21
	s_wait_loadcnt 0x5
	v_mul_f32_e64 v22, v11, -v16
	v_mul_f32_e32 v11, v11, v15
	v_mul_f32_e32 v24, v23, v21
	s_delay_alu instid0(VALU_DEP_3) | instskip(NEXT) | instid1(VALU_DEP_3)
	v_fmac_f32_e32 v22, v15, v10
	v_fmac_f32_e32 v11, v16, v10
	s_wait_loadcnt 0x2
	v_mul_f32_e64 v16, v18, -v9
	s_delay_alu instid0(VALU_DEP_3) | instskip(NEXT) | instid1(VALU_DEP_3)
	v_dual_sub_f32 v12, v12, v22 :: v_dual_mul_f32 v15, v18, v8
	v_sub_f32_e32 v11, v13, v11
	s_wait_loadcnt 0x0
	v_mul_f32_e64 v13, v20, -v7
	v_mul_f32_e32 v18, v20, v6
	v_fmac_f32_e32 v16, v8, v17
	v_fma_f32 v10, -v14, v24, v23
	v_fmac_f32_e32 v15, v9, v17
	v_fmac_f32_e32 v13, v6, v19
	s_delay_alu instid0(VALU_DEP_4) | instskip(NEXT) | instid1(VALU_DEP_4)
	v_dual_fmac_f32 v18, v7, v19 :: v_dual_sub_f32 v7, v12, v16
	v_fmac_f32_e32 v24, v10, v21
	s_delay_alu instid0(VALU_DEP_4) | instskip(NEXT) | instid1(VALU_DEP_3)
	v_sub_f32_e32 v6, v11, v15
	v_sub_f32_e32 v10, v7, v13
	s_delay_alu instid0(VALU_DEP_3) | instskip(NEXT) | instid1(VALU_DEP_3)
	v_fma_f32 v8, -v14, v24, v23
	v_sub_f32_e32 v9, v6, v18
	v_mul_f32_e64 v6, v51, -v5
	v_mul_f32_e32 v7, v51, v4
	v_mul_f32_e64 v12, v39, -v10
	s_delay_alu instid0(VALU_DEP_4) | instskip(NEXT) | instid1(VALU_DEP_4)
	v_mul_f32_e32 v11, v39, v9
	v_fmac_f32_e32 v6, v4, v53
	s_delay_alu instid0(VALU_DEP_4) | instskip(NEXT) | instid1(VALU_DEP_4)
	v_fmac_f32_e32 v7, v5, v53
	v_fmac_f32_e32 v12, v9, v38
	s_wait_alu 0xfffd
	v_div_fmas_f32 v8, v8, v21, v24
	v_fmac_f32_e32 v11, v10, v38
	s_delay_alu instid0(VALU_DEP_2) | instskip(SKIP_3) | instid1(VALU_DEP_3)
	v_div_fixup_f32 v8, v8, v1, 1.0
	v_add_co_u32 v1, vcc_lo, s14, v2
	s_wait_alu 0xfffd
	v_add_co_ci_u32_e64 v2, null, s15, v3, vcc_lo
	v_mul_f32_e32 v3, v8, v11
	v_mul_f32_e32 v4, v8, v12
	global_store_b64 v[1:2], v[6:7], off
	global_store_b64 v[31:32], v[3:4], off
	s_cbranch_scc1 .LBB8_25
; %bb.23:
	s_add_co_i32 s4, s16, -5
	s_add_co_i32 s0, s16, -4
	s_wait_alu 0xfffe
	v_mad_co_u64_u32 v[1:2], null, s17, s4, v[0:1]
	s_add_co_i32 s5, s16, -3
	v_mad_co_u64_u32 v[2:3], null, s18, s0, v[0:1]
	s_wait_alu 0xfffe
	v_mad_co_u64_u32 v[3:4], null, s18, s5, v[0:1]
	v_mad_co_u64_u32 v[4:5], null, s18, s22, v[0:1]
	;; [unrolled: 1-line block ×3, first 2 shown]
	v_add_nc_u32_e32 v0, s1, v0
.LBB8_24:                               ; =>This Inner Loop Header: Depth=1
	s_delay_alu instid0(VALU_DEP_2)
	v_add_nc_u32_e32 v6, s19, v5
	v_add_nc_u32_e32 v8, s19, v2
	;; [unrolled: 1-line block ×5, first 2 shown]
	v_ashrrev_i32_e32 v7, 31, v6
	v_ashrrev_i32_e32 v9, 31, v8
	;; [unrolled: 1-line block ×5, first 2 shown]
	v_lshlrev_b64_e32 v[6:7], 3, v[6:7]
	v_lshlrev_b64_e32 v[8:9], 3, v[8:9]
	;; [unrolled: 1-line block ×3, first 2 shown]
	v_add_nc_u32_e32 v16, s19, v0
	v_lshlrev_b64_e32 v[12:13], 3, v[12:13]
	v_lshlrev_b64_e32 v[14:15], 3, v[14:15]
	v_add_co_u32 v18, vcc_lo, s2, v6
	s_wait_alu 0xfffd
	v_add_co_ci_u32_e64 v19, null, s3, v7, vcc_lo
	v_add_co_u32 v20, vcc_lo, s8, v6
	s_wait_alu 0xfffd
	v_add_co_ci_u32_e64 v21, null, s9, v7, vcc_lo
	;; [unrolled: 3-line block ×4, first 2 shown]
	v_add_co_u32 v10, vcc_lo, s2, v10
	v_ashrrev_i32_e32 v17, 31, v16
	s_wait_alu 0xfffd
	v_add_co_ci_u32_e64 v11, null, s3, v11, vcc_lo
	v_add_co_u32 v24, vcc_lo, s12, v12
	s_wait_alu 0xfffd
	v_add_co_ci_u32_e64 v25, null, s13, v13, vcc_lo
	v_add_co_u32 v14, vcc_lo, s2, v14
	v_lshlrev_b64_e32 v[16:17], 3, v[16:17]
	s_wait_alu 0xfffd
	v_add_co_ci_u32_e64 v15, null, s3, v15, vcc_lo
	v_add_co_u32 v12, vcc_lo, s14, v12
	s_wait_alu 0xfffd
	v_add_co_ci_u32_e64 v13, null, s15, v13, vcc_lo
	v_add_co_u32 v6, vcc_lo, s6, v6
	;; [unrolled: 3-line block ×3, first 2 shown]
	s_wait_alu 0xfffd
	v_add_co_ci_u32_e64 v17, null, s3, v17, vcc_lo
	global_load_b64 v[6:7], v[6:7], off
	global_load_b64 v[20:21], v[20:21], off
	;; [unrolled: 1-line block ×6, first 2 shown]
	s_clause 0x1
	global_load_b64 v[14:15], v[14:15], off
	global_load_b64 v[26:27], v[18:19], off
	;; [unrolled: 1-line block ×4, first 2 shown]
	v_subrev_nc_u32_e32 v1, s17, v1
	v_subrev_nc_u32_e32 v2, s18, v2
	;; [unrolled: 1-line block ×6, first 2 shown]
	s_add_co_i32 s0, s0, -1
	s_wait_alu 0xfffe
	s_cmp_lg_u32 s0, 0
	s_wait_loadcnt 0x9
	v_mul_f32_e32 v28, v7, v7
	s_wait_loadcnt 0x7
	v_mul_f32_e64 v29, v9, -v21
	v_mul_f32_e32 v9, v9, v20
	s_wait_loadcnt 0x5
	v_mul_f32_e64 v30, v11, -v23
	;; [unrolled: 3-line block ×3, first 2 shown]
	v_mul_f32_e32 v15, v15, v24
	v_fmac_f32_e32 v9, v21, v8
	s_wait_loadcnt 0x0
	v_mul_f32_e64 v33, v17, -v13
	v_dual_mul_f32 v17, v17, v12 :: v_dual_fmac_f32 v28, v6, v6
	v_dual_fmac_f32 v29, v20, v8 :: v_dual_fmac_f32 v30, v22, v10
	s_delay_alu instid0(VALU_DEP_3) | instskip(SKIP_1) | instid1(VALU_DEP_4)
	v_fmac_f32_e32 v33, v12, v16
	v_fmac_f32_e32 v15, v25, v14
	v_div_scale_f32 v32, null, v28, v28, 1.0
	v_fmac_f32_e32 v11, v23, v10
	v_fmac_f32_e32 v31, v24, v14
	v_div_scale_f32 v10, vcc_lo, 1.0, v28, 1.0
	s_delay_alu instid0(VALU_DEP_4) | instskip(NEXT) | instid1(TRANS32_DEP_1)
	v_rcp_f32_e32 v34, v32
	v_fma_f32 v8, -v32, v34, 1.0
	s_delay_alu instid0(VALU_DEP_1) | instskip(SKIP_1) | instid1(VALU_DEP_1)
	v_dual_fmac_f32 v17, v13, v16 :: v_dual_fmac_f32 v34, v8, v34
	v_sub_f32_e32 v8, v26, v29
	v_dual_sub_f32 v9, v27, v9 :: v_dual_sub_f32 v8, v8, v30
	s_delay_alu instid0(VALU_DEP_1) | instskip(NEXT) | instid1(VALU_DEP_1)
	v_sub_f32_e32 v8, v8, v31
	v_dual_sub_f32 v9, v9, v11 :: v_dual_sub_f32 v8, v8, v33
	s_delay_alu instid0(VALU_DEP_1) | instskip(NEXT) | instid1(VALU_DEP_1)
	v_sub_f32_e32 v9, v9, v15
	v_sub_f32_e32 v9, v9, v17
	v_mul_f32_e32 v11, v10, v34
	s_delay_alu instid0(VALU_DEP_1) | instskip(NEXT) | instid1(VALU_DEP_1)
	v_fma_f32 v12, -v32, v11, v10
	v_dual_fmac_f32 v11, v12, v34 :: v_dual_mul_f32 v12, v7, v9
	v_mul_f32_e64 v7, v7, -v8
	s_delay_alu instid0(VALU_DEP_2) | instskip(NEXT) | instid1(VALU_DEP_3)
	v_fma_f32 v10, -v32, v11, v10
	v_fmac_f32_e32 v12, v8, v6
	s_wait_alu 0xfffd
	s_delay_alu instid0(VALU_DEP_2) | instskip(NEXT) | instid1(VALU_DEP_1)
	v_div_fmas_f32 v10, v10, v34, v11
	v_div_fixup_f32 v8, v10, v28, 1.0
	s_delay_alu instid0(VALU_DEP_1) | instskip(NEXT) | instid1(VALU_DEP_1)
	v_dual_fmac_f32 v7, v9, v6 :: v_dual_mul_f32 v6, v8, v12
	v_mul_f32_e32 v7, v8, v7
	global_store_b64 v[18:19], v[6:7], off
	s_cbranch_scc1 .LBB8_24
.LBB8_25:
	s_endpgm
	.section	.rodata,"a",@progbits
	.p2align	6, 0x0
	.amdhsa_kernel _ZN9rocsparseL39gpsv_interleaved_batch_givens_qr_kernelILj128E21rocsparse_complex_numIfEEEviiiPT0_S4_S4_S4_S4_S4_S4_S4_
		.amdhsa_group_segment_fixed_size 0
		.amdhsa_private_segment_fixed_size 0
		.amdhsa_kernarg_size 80
		.amdhsa_user_sgpr_count 2
		.amdhsa_user_sgpr_dispatch_ptr 0
		.amdhsa_user_sgpr_queue_ptr 0
		.amdhsa_user_sgpr_kernarg_segment_ptr 1
		.amdhsa_user_sgpr_dispatch_id 0
		.amdhsa_user_sgpr_private_segment_size 0
		.amdhsa_wavefront_size32 1
		.amdhsa_uses_dynamic_stack 0
		.amdhsa_enable_private_segment 0
		.amdhsa_system_sgpr_workgroup_id_x 1
		.amdhsa_system_sgpr_workgroup_id_y 0
		.amdhsa_system_sgpr_workgroup_id_z 0
		.amdhsa_system_sgpr_workgroup_info 0
		.amdhsa_system_vgpr_workitem_id 0
		.amdhsa_next_free_vgpr 78
		.amdhsa_next_free_sgpr 26
		.amdhsa_reserve_vcc 1
		.amdhsa_float_round_mode_32 0
		.amdhsa_float_round_mode_16_64 0
		.amdhsa_float_denorm_mode_32 3
		.amdhsa_float_denorm_mode_16_64 3
		.amdhsa_fp16_overflow 0
		.amdhsa_workgroup_processor_mode 1
		.amdhsa_memory_ordered 1
		.amdhsa_forward_progress 1
		.amdhsa_inst_pref_size 65
		.amdhsa_round_robin_scheduling 0
		.amdhsa_exception_fp_ieee_invalid_op 0
		.amdhsa_exception_fp_denorm_src 0
		.amdhsa_exception_fp_ieee_div_zero 0
		.amdhsa_exception_fp_ieee_overflow 0
		.amdhsa_exception_fp_ieee_underflow 0
		.amdhsa_exception_fp_ieee_inexact 0
		.amdhsa_exception_int_div_zero 0
	.end_amdhsa_kernel
	.section	.text._ZN9rocsparseL39gpsv_interleaved_batch_givens_qr_kernelILj128E21rocsparse_complex_numIfEEEviiiPT0_S4_S4_S4_S4_S4_S4_S4_,"axG",@progbits,_ZN9rocsparseL39gpsv_interleaved_batch_givens_qr_kernelILj128E21rocsparse_complex_numIfEEEviiiPT0_S4_S4_S4_S4_S4_S4_S4_,comdat
.Lfunc_end8:
	.size	_ZN9rocsparseL39gpsv_interleaved_batch_givens_qr_kernelILj128E21rocsparse_complex_numIfEEEviiiPT0_S4_S4_S4_S4_S4_S4_S4_, .Lfunc_end8-_ZN9rocsparseL39gpsv_interleaved_batch_givens_qr_kernelILj128E21rocsparse_complex_numIfEEEviiiPT0_S4_S4_S4_S4_S4_S4_S4_
                                        ; -- End function
	.set _ZN9rocsparseL39gpsv_interleaved_batch_givens_qr_kernelILj128E21rocsparse_complex_numIfEEEviiiPT0_S4_S4_S4_S4_S4_S4_S4_.num_vgpr, 78
	.set _ZN9rocsparseL39gpsv_interleaved_batch_givens_qr_kernelILj128E21rocsparse_complex_numIfEEEviiiPT0_S4_S4_S4_S4_S4_S4_S4_.num_agpr, 0
	.set _ZN9rocsparseL39gpsv_interleaved_batch_givens_qr_kernelILj128E21rocsparse_complex_numIfEEEviiiPT0_S4_S4_S4_S4_S4_S4_S4_.numbered_sgpr, 26
	.set _ZN9rocsparseL39gpsv_interleaved_batch_givens_qr_kernelILj128E21rocsparse_complex_numIfEEEviiiPT0_S4_S4_S4_S4_S4_S4_S4_.num_named_barrier, 0
	.set _ZN9rocsparseL39gpsv_interleaved_batch_givens_qr_kernelILj128E21rocsparse_complex_numIfEEEviiiPT0_S4_S4_S4_S4_S4_S4_S4_.private_seg_size, 0
	.set _ZN9rocsparseL39gpsv_interleaved_batch_givens_qr_kernelILj128E21rocsparse_complex_numIfEEEviiiPT0_S4_S4_S4_S4_S4_S4_S4_.uses_vcc, 1
	.set _ZN9rocsparseL39gpsv_interleaved_batch_givens_qr_kernelILj128E21rocsparse_complex_numIfEEEviiiPT0_S4_S4_S4_S4_S4_S4_S4_.uses_flat_scratch, 0
	.set _ZN9rocsparseL39gpsv_interleaved_batch_givens_qr_kernelILj128E21rocsparse_complex_numIfEEEviiiPT0_S4_S4_S4_S4_S4_S4_S4_.has_dyn_sized_stack, 0
	.set _ZN9rocsparseL39gpsv_interleaved_batch_givens_qr_kernelILj128E21rocsparse_complex_numIfEEEviiiPT0_S4_S4_S4_S4_S4_S4_S4_.has_recursion, 0
	.set _ZN9rocsparseL39gpsv_interleaved_batch_givens_qr_kernelILj128E21rocsparse_complex_numIfEEEviiiPT0_S4_S4_S4_S4_S4_S4_S4_.has_indirect_call, 0
	.section	.AMDGPU.csdata,"",@progbits
; Kernel info:
; codeLenInByte = 8212
; TotalNumSgprs: 28
; NumVgprs: 78
; ScratchSize: 0
; MemoryBound: 0
; FloatMode: 240
; IeeeMode: 1
; LDSByteSize: 0 bytes/workgroup (compile time only)
; SGPRBlocks: 0
; VGPRBlocks: 9
; NumSGPRsForWavesPerEU: 28
; NumVGPRsForWavesPerEU: 78
; Occupancy: 16
; WaveLimiterHint : 0
; COMPUTE_PGM_RSRC2:SCRATCH_EN: 0
; COMPUTE_PGM_RSRC2:USER_SGPR: 2
; COMPUTE_PGM_RSRC2:TRAP_HANDLER: 0
; COMPUTE_PGM_RSRC2:TGID_X_EN: 1
; COMPUTE_PGM_RSRC2:TGID_Y_EN: 0
; COMPUTE_PGM_RSRC2:TGID_Z_EN: 0
; COMPUTE_PGM_RSRC2:TIDIG_COMP_CNT: 0
	.section	.text._ZN9rocsparseL19gpsv_strided_gatherILj256E21rocsparse_complex_numIdEEEviiiPKT0_PS3_,"axG",@progbits,_ZN9rocsparseL19gpsv_strided_gatherILj256E21rocsparse_complex_numIdEEEviiiPKT0_PS3_,comdat
	.globl	_ZN9rocsparseL19gpsv_strided_gatherILj256E21rocsparse_complex_numIdEEEviiiPKT0_PS3_ ; -- Begin function _ZN9rocsparseL19gpsv_strided_gatherILj256E21rocsparse_complex_numIdEEEviiiPKT0_PS3_
	.p2align	8
	.type	_ZN9rocsparseL19gpsv_strided_gatherILj256E21rocsparse_complex_numIdEEEviiiPKT0_PS3_,@function
_ZN9rocsparseL19gpsv_strided_gatherILj256E21rocsparse_complex_numIdEEEviiiPKT0_PS3_: ; @_ZN9rocsparseL19gpsv_strided_gatherILj256E21rocsparse_complex_numIdEEEviiiPKT0_PS3_
; %bb.0:
	s_clause 0x1
	s_load_b32 s2, s[0:1], 0x2c
	s_load_b96 s[4:6], s[0:1], 0x0
	s_wait_kmcnt 0x0
	s_and_b32 s2, s2, 0xffff
	s_cmp_gt_i32 s4, 0
	v_mad_co_u64_u32 v[0:1], null, ttmp9, s2, v[0:1]
	s_cselect_b32 s2, -1, 0
	v_cmp_gt_i32_e32 vcc_lo, s5, v0
	s_wait_alu 0xfffe
	s_and_b32 s2, vcc_lo, s2
	s_wait_alu 0xfffe
	s_and_saveexec_b32 s3, s2
	s_cbranch_execz .LBB9_3
; %bb.1:
	s_load_b128 s[0:3], s[0:1], 0x10
	v_mov_b32_e32 v2, v0
.LBB9_2:                                ; =>This Inner Loop Header: Depth=1
	v_ashrrev_i32_e32 v1, 31, v0
	s_add_co_i32 s4, s4, -1
	s_wait_alu 0xfffe
	s_cmp_lg_u32 s4, 0
	s_delay_alu instid0(VALU_DEP_1) | instskip(SKIP_2) | instid1(VALU_DEP_2)
	v_lshlrev_b64_e32 v[3:4], 4, v[0:1]
	v_add_nc_u32_e32 v0, s6, v0
	s_wait_kmcnt 0x0
	v_add_co_u32 v3, vcc_lo, s0, v3
	s_wait_alu 0xfffd
	s_delay_alu instid0(VALU_DEP_3) | instskip(SKIP_2) | instid1(VALU_DEP_1)
	v_add_co_ci_u32_e64 v4, null, s1, v4, vcc_lo
	global_load_b128 v[4:7], v[3:4], off
	v_ashrrev_i32_e32 v3, 31, v2
	v_lshlrev_b64_e32 v[8:9], 4, v[2:3]
	v_add_nc_u32_e32 v2, s5, v2
	s_delay_alu instid0(VALU_DEP_2) | instskip(SKIP_1) | instid1(VALU_DEP_3)
	v_add_co_u32 v8, vcc_lo, s2, v8
	s_wait_alu 0xfffd
	v_add_co_ci_u32_e64 v9, null, s3, v9, vcc_lo
	s_wait_loadcnt 0x0
	global_store_b128 v[8:9], v[4:7], off
	s_cbranch_scc1 .LBB9_2
.LBB9_3:
	s_endpgm
	.section	.rodata,"a",@progbits
	.p2align	6, 0x0
	.amdhsa_kernel _ZN9rocsparseL19gpsv_strided_gatherILj256E21rocsparse_complex_numIdEEEviiiPKT0_PS3_
		.amdhsa_group_segment_fixed_size 0
		.amdhsa_private_segment_fixed_size 0
		.amdhsa_kernarg_size 288
		.amdhsa_user_sgpr_count 2
		.amdhsa_user_sgpr_dispatch_ptr 0
		.amdhsa_user_sgpr_queue_ptr 0
		.amdhsa_user_sgpr_kernarg_segment_ptr 1
		.amdhsa_user_sgpr_dispatch_id 0
		.amdhsa_user_sgpr_private_segment_size 0
		.amdhsa_wavefront_size32 1
		.amdhsa_uses_dynamic_stack 0
		.amdhsa_enable_private_segment 0
		.amdhsa_system_sgpr_workgroup_id_x 1
		.amdhsa_system_sgpr_workgroup_id_y 0
		.amdhsa_system_sgpr_workgroup_id_z 0
		.amdhsa_system_sgpr_workgroup_info 0
		.amdhsa_system_vgpr_workitem_id 0
		.amdhsa_next_free_vgpr 10
		.amdhsa_next_free_sgpr 7
		.amdhsa_reserve_vcc 1
		.amdhsa_float_round_mode_32 0
		.amdhsa_float_round_mode_16_64 0
		.amdhsa_float_denorm_mode_32 3
		.amdhsa_float_denorm_mode_16_64 3
		.amdhsa_fp16_overflow 0
		.amdhsa_workgroup_processor_mode 1
		.amdhsa_memory_ordered 1
		.amdhsa_forward_progress 1
		.amdhsa_inst_pref_size 2
		.amdhsa_round_robin_scheduling 0
		.amdhsa_exception_fp_ieee_invalid_op 0
		.amdhsa_exception_fp_denorm_src 0
		.amdhsa_exception_fp_ieee_div_zero 0
		.amdhsa_exception_fp_ieee_overflow 0
		.amdhsa_exception_fp_ieee_underflow 0
		.amdhsa_exception_fp_ieee_inexact 0
		.amdhsa_exception_int_div_zero 0
	.end_amdhsa_kernel
	.section	.text._ZN9rocsparseL19gpsv_strided_gatherILj256E21rocsparse_complex_numIdEEEviiiPKT0_PS3_,"axG",@progbits,_ZN9rocsparseL19gpsv_strided_gatherILj256E21rocsparse_complex_numIdEEEviiiPKT0_PS3_,comdat
.Lfunc_end9:
	.size	_ZN9rocsparseL19gpsv_strided_gatherILj256E21rocsparse_complex_numIdEEEviiiPKT0_PS3_, .Lfunc_end9-_ZN9rocsparseL19gpsv_strided_gatherILj256E21rocsparse_complex_numIdEEEviiiPKT0_PS3_
                                        ; -- End function
	.set _ZN9rocsparseL19gpsv_strided_gatherILj256E21rocsparse_complex_numIdEEEviiiPKT0_PS3_.num_vgpr, 10
	.set _ZN9rocsparseL19gpsv_strided_gatherILj256E21rocsparse_complex_numIdEEEviiiPKT0_PS3_.num_agpr, 0
	.set _ZN9rocsparseL19gpsv_strided_gatherILj256E21rocsparse_complex_numIdEEEviiiPKT0_PS3_.numbered_sgpr, 7
	.set _ZN9rocsparseL19gpsv_strided_gatherILj256E21rocsparse_complex_numIdEEEviiiPKT0_PS3_.num_named_barrier, 0
	.set _ZN9rocsparseL19gpsv_strided_gatherILj256E21rocsparse_complex_numIdEEEviiiPKT0_PS3_.private_seg_size, 0
	.set _ZN9rocsparseL19gpsv_strided_gatherILj256E21rocsparse_complex_numIdEEEviiiPKT0_PS3_.uses_vcc, 1
	.set _ZN9rocsparseL19gpsv_strided_gatherILj256E21rocsparse_complex_numIdEEEviiiPKT0_PS3_.uses_flat_scratch, 0
	.set _ZN9rocsparseL19gpsv_strided_gatherILj256E21rocsparse_complex_numIdEEEviiiPKT0_PS3_.has_dyn_sized_stack, 0
	.set _ZN9rocsparseL19gpsv_strided_gatherILj256E21rocsparse_complex_numIdEEEviiiPKT0_PS3_.has_recursion, 0
	.set _ZN9rocsparseL19gpsv_strided_gatherILj256E21rocsparse_complex_numIdEEEviiiPKT0_PS3_.has_indirect_call, 0
	.section	.AMDGPU.csdata,"",@progbits
; Kernel info:
; codeLenInByte = 212
; TotalNumSgprs: 9
; NumVgprs: 10
; ScratchSize: 0
; MemoryBound: 0
; FloatMode: 240
; IeeeMode: 1
; LDSByteSize: 0 bytes/workgroup (compile time only)
; SGPRBlocks: 0
; VGPRBlocks: 1
; NumSGPRsForWavesPerEU: 9
; NumVGPRsForWavesPerEU: 10
; Occupancy: 16
; WaveLimiterHint : 0
; COMPUTE_PGM_RSRC2:SCRATCH_EN: 0
; COMPUTE_PGM_RSRC2:USER_SGPR: 2
; COMPUTE_PGM_RSRC2:TRAP_HANDLER: 0
; COMPUTE_PGM_RSRC2:TGID_X_EN: 1
; COMPUTE_PGM_RSRC2:TGID_Y_EN: 0
; COMPUTE_PGM_RSRC2:TGID_Z_EN: 0
; COMPUTE_PGM_RSRC2:TIDIG_COMP_CNT: 0
	.section	.text._ZN9rocsparseL44gpsv_interleaved_batch_householder_qr_kernelILj256E21rocsparse_complex_numIdEEEviiiPT0_S4_S4_S4_S4_S4_S4_S4_S4_,"axG",@progbits,_ZN9rocsparseL44gpsv_interleaved_batch_householder_qr_kernelILj256E21rocsparse_complex_numIdEEEviiiPT0_S4_S4_S4_S4_S4_S4_S4_S4_,comdat
	.globl	_ZN9rocsparseL44gpsv_interleaved_batch_householder_qr_kernelILj256E21rocsparse_complex_numIdEEEviiiPT0_S4_S4_S4_S4_S4_S4_S4_S4_ ; -- Begin function _ZN9rocsparseL44gpsv_interleaved_batch_householder_qr_kernelILj256E21rocsparse_complex_numIdEEEviiiPT0_S4_S4_S4_S4_S4_S4_S4_S4_
	.p2align	8
	.type	_ZN9rocsparseL44gpsv_interleaved_batch_householder_qr_kernelILj256E21rocsparse_complex_numIdEEEviiiPT0_S4_S4_S4_S4_S4_S4_S4_S4_,@function
_ZN9rocsparseL44gpsv_interleaved_batch_householder_qr_kernelILj256E21rocsparse_complex_numIdEEEviiiPT0_S4_S4_S4_S4_S4_S4_S4_S4_: ; @_ZN9rocsparseL44gpsv_interleaved_batch_householder_qr_kernelILj256E21rocsparse_complex_numIdEEEviiiPT0_S4_S4_S4_S4_S4_S4_S4_S4_
; %bb.0:
	s_clause 0x1
	s_load_b32 s2, s[0:1], 0x64
	s_load_b96 s[20:22], s[0:1], 0x0
	s_wait_kmcnt 0x0
	s_and_b32 s2, s2, 0xffff
	s_delay_alu instid0(SALU_CYCLE_1) | instskip(SKIP_2) | instid1(VALU_DEP_1)
	s_mul_i32 s5, ttmp9, s2
	s_mov_b32 s2, exec_lo
	v_add_nc_u32_e32 v1, s5, v0
	v_cmpx_gt_i32_e64 s21, v1
	s_cbranch_execz .LBB10_32
; %bb.1:
	s_clause 0x3
	s_load_b64 s[6:7], s[0:1], 0x50
	s_load_b128 s[8:11], s[0:1], 0x40
	s_load_b128 s[12:15], s[0:1], 0x20
	s_load_b64 s[24:25], s[0:1], 0x30
	s_add_co_i32 s23, s20, -1
	s_cmp_lt_i32 s20, 2
	s_cbranch_scc1 .LBB10_19
; %bb.2:
	s_load_b128 s[16:19], s[0:1], 0x10
	v_dual_mov_b32 v88, v0 :: v_dual_add_nc_u32 v83, s21, v0
	v_lshl_add_u32 v84, s21, 1, v0
	v_add_nc_u32_e32 v85, s22, v0
	v_lshl_add_u32 v86, s22, 1, v0
	v_mov_b32_e32 v87, v0
	s_mov_b32 s26, s23
	s_branch .LBB10_4
.LBB10_3:                               ;   in Loop: Header=BB10_4 Depth=1
	s_or_b32 exec_lo, exec_lo, s28
	v_add_nc_u32_e32 v83, s21, v83
	v_add_nc_u32_e32 v84, s21, v84
	;; [unrolled: 1-line block ×6, first 2 shown]
	s_add_co_i32 s26, s26, -1
	s_delay_alu instid0(SALU_CYCLE_1)
	s_cmp_eq_u32 s26, 0
	s_cbranch_scc1 .LBB10_19
.LBB10_4:                               ; =>This Inner Loop Header: Depth=1
	s_wait_loadcnt 0x0
	v_add_nc_u32_e32 v3, s5, v83
	v_add_nc_u32_e32 v1, s5, v85
	v_mov_b32_e32 v5, 0
	v_mov_b32_e32 v7, 0
	;; [unrolled: 1-line block ×3, first 2 shown]
	v_ashrrev_i32_e32 v4, 31, v3
	v_mov_b32_e32 v27, 0
	v_mov_b32_e32 v29, 0
	;; [unrolled: 1-line block ×4, first 2 shown]
	v_lshlrev_b64_e32 v[49:50], 4, v[3:4]
	v_dual_mov_b32 v3, 0 :: v_dual_mov_b32 v26, 0
	v_mov_b32_e32 v4, 0
	v_ashrrev_i32_e32 v2, 31, v1
	v_mov_b32_e32 v35, 0
	v_mov_b32_e32 v41, 0
	;; [unrolled: 1-line block ×3, first 2 shown]
	v_dual_mov_b32 v6, 0 :: v_dual_add_nc_u32 v53, s5, v86
	v_lshlrev_b64_e32 v[1:2], 4, v[1:2]
	v_mov_b32_e32 v28, 0
	v_mov_b32_e32 v30, 0
	;; [unrolled: 1-line block ×5, first 2 shown]
	s_wait_kmcnt 0x0
	v_add_co_u32 v57, vcc_lo, s18, v1
	s_wait_alu 0xfffd
	v_add_co_ci_u32_e64 v58, null, s19, v2, vcc_lo
	v_add_co_u32 v59, vcc_lo, s12, v1
	s_wait_alu 0xfffd
	v_add_co_ci_u32_e64 v60, null, s13, v2, vcc_lo
	;; [unrolled: 3-line block ×5, first 2 shown]
	global_load_b128 v[37:40], v[57:58], off
	global_load_b128 v[21:24], v[59:60], off
	;; [unrolled: 1-line block ×5, first 2 shown]
	v_dual_mov_b32 v1, 0 :: v_dual_mov_b32 v8, 0
	v_mov_b32_e32 v2, 0
	v_mov_b32_e32 v42, 0
	v_dual_mov_b32 v44, 0 :: v_dual_add_nc_u32 v55, s5, v84
	s_cmp_lg_u32 s26, 1
	s_cselect_b32 s27, -1, 0
	s_cmp_eq_u32 s26, 1
	s_cbranch_scc1 .LBB10_6
; %bb.5:                                ;   in Loop: Header=BB10_4 Depth=1
	v_ashrrev_i32_e32 v54, 31, v53
	v_ashrrev_i32_e32 v56, 31, v55
	s_delay_alu instid0(VALU_DEP_2) | instskip(NEXT) | instid1(VALU_DEP_2)
	v_lshlrev_b64_e32 v[1:2], 4, v[53:54]
	v_lshlrev_b64_e32 v[25:26], 4, v[55:56]
	s_delay_alu instid0(VALU_DEP_2) | instskip(SKIP_1) | instid1(VALU_DEP_3)
	v_add_co_u32 v3, vcc_lo, s16, v1
	s_wait_alu 0xfffd
	v_add_co_ci_u32_e64 v4, null, s17, v2, vcc_lo
	v_add_co_u32 v5, vcc_lo, s18, v1
	s_wait_alu 0xfffd
	v_add_co_ci_u32_e64 v6, null, s19, v2, vcc_lo
	;; [unrolled: 3-line block ×3, first 2 shown]
	global_load_b128 v[41:44], v[3:4], off
	v_add_co_u32 v3, vcc_lo, s14, v1
	s_wait_alu 0xfffd
	v_add_co_ci_u32_e64 v4, null, s15, v2, vcc_lo
	v_add_co_u32 v1, vcc_lo, s24, v1
	s_wait_alu 0xfffd
	v_add_co_ci_u32_e64 v2, null, s25, v2, vcc_lo
	;; [unrolled: 3-line block ×3, first 2 shown]
	global_load_b128 v[33:36], v[5:6], off
	global_load_b128 v[29:32], v[7:8], off
	global_load_b128 v[25:28], v[3:4], off
	global_load_b128 v[5:8], v[1:2], off
	global_load_b128 v[1:4], v[45:46], off
.LBB10_6:                               ;   in Loop: Header=BB10_4 Depth=1
	s_wait_loadcnt 0x5
	v_mul_f64_e64 v[45:46], v[43:44], -v[43:44]
	v_mul_f64_e32 v[47:48], v[41:42], v[43:44]
	s_delay_alu instid0(VALU_DEP_2) | instskip(NEXT) | instid1(VALU_DEP_2)
	v_fma_f64 v[45:46], v[41:42], v[41:42], v[45:46]
	v_fma_f64 v[47:48], v[43:44], v[41:42], v[47:48]
	s_wait_loadcnt 0x4
	s_delay_alu instid0(VALU_DEP_2) | instskip(NEXT) | instid1(VALU_DEP_2)
	v_fma_f64 v[45:46], v[37:38], v[37:38], v[45:46]
	v_fma_f64 v[47:48], v[39:40], v[37:38], v[47:48]
	s_delay_alu instid0(VALU_DEP_2) | instskip(NEXT) | instid1(VALU_DEP_2)
	v_fma_f64 v[73:74], -v[39:40], v[39:40], v[45:46]
	v_fma_f64 v[75:76], v[37:38], v[39:40], v[47:48]
	s_delay_alu instid0(VALU_DEP_2) | instskip(NEXT) | instid1(VALU_DEP_2)
	v_cmp_neq_f64_e32 vcc_lo, 0, v[73:74]
	v_cmp_neq_f64_e64 s2, 0, v[75:76]
	s_or_b32 s2, vcc_lo, s2
	s_wait_alu 0xfffe
	s_and_saveexec_b32 s28, s2
	s_cbranch_execz .LBB10_3
; %bb.7:                                ;   in Loop: Header=BB10_4 Depth=1
	v_add_nc_u32_e32 v45, s5, v87
	s_mov_b32 s3, exec_lo
                                        ; implicit-def: $vgpr79_vgpr80
	s_delay_alu instid0(VALU_DEP_1) | instskip(NEXT) | instid1(VALU_DEP_1)
	v_ashrrev_i32_e32 v46, 31, v45
	v_lshlrev_b64_e32 v[51:52], 4, v[45:46]
	s_delay_alu instid0(VALU_DEP_1) | instskip(SKIP_1) | instid1(VALU_DEP_2)
	v_add_co_u32 v67, vcc_lo, s12, v51
	s_wait_alu 0xfffd
	v_add_co_ci_u32_e64 v68, null, s13, v52, vcc_lo
	global_load_b128 v[45:48], v[67:68], off
	s_wait_loadcnt 0x0
	v_fma_f64 v[69:70], v[45:46], v[45:46], v[73:74]
	v_fma_f64 v[71:72], v[47:48], v[45:46], v[75:76]
	s_delay_alu instid0(VALU_DEP_2) | instskip(NEXT) | instid1(VALU_DEP_2)
	v_fma_f64 v[69:70], -v[47:48], v[47:48], v[69:70]
	v_fma_f64 v[81:82], v[45:46], v[47:48], v[71:72]
	s_delay_alu instid0(VALU_DEP_2) | instskip(NEXT) | instid1(VALU_DEP_2)
	v_cmp_gt_f64_e32 vcc_lo, 0, v[69:70]
	v_cmp_gt_f64_e64 s2, 0, v[81:82]
	v_xor_b32_e32 v54, 0x80000000, v70
	v_xor_b32_e32 v56, 0x80000000, v82
	v_mov_b32_e32 v71, v69
	s_wait_alu 0xfffd
	s_delay_alu instid0(VALU_DEP_3) | instskip(SKIP_2) | instid1(VALU_DEP_1)
	v_dual_mov_b32 v77, v81 :: v_dual_cndmask_b32 v72, v70, v54
	s_wait_alu 0xf1ff
	v_cndmask_b32_e64 v78, v82, v56, s2
	v_cmpx_ngt_f64_e32 v[71:72], v[77:78]
	s_wait_alu 0xfffe
	s_xor_b32 s3, exec_lo, s3
	s_cbranch_execz .LBB10_11
; %bb.8:                                ;   in Loop: Header=BB10_4 Depth=1
	v_mov_b32_e32 v79, 0
	v_mov_b32_e32 v80, 0
	s_mov_b32 s4, exec_lo
	v_cmpx_neq_f64_e32 0, v[81:82]
	s_cbranch_execz .LBB10_10
; %bb.9:                                ;   in Loop: Header=BB10_4 Depth=1
	v_div_scale_f64 v[79:80], null, v[77:78], v[77:78], v[71:72]
	v_div_scale_f64 v[91:92], vcc_lo, v[71:72], v[77:78], v[71:72]
	s_delay_alu instid0(VALU_DEP_2) | instskip(NEXT) | instid1(TRANS32_DEP_1)
	v_rcp_f64_e32 v[81:82], v[79:80]
	v_fma_f64 v[89:90], -v[79:80], v[81:82], 1.0
	s_delay_alu instid0(VALU_DEP_1) | instskip(NEXT) | instid1(VALU_DEP_1)
	v_fma_f64 v[81:82], v[81:82], v[89:90], v[81:82]
	v_fma_f64 v[89:90], -v[79:80], v[81:82], 1.0
	s_delay_alu instid0(VALU_DEP_1) | instskip(NEXT) | instid1(VALU_DEP_1)
	v_fma_f64 v[81:82], v[81:82], v[89:90], v[81:82]
	v_mul_f64_e32 v[89:90], v[91:92], v[81:82]
	s_delay_alu instid0(VALU_DEP_1) | instskip(SKIP_1) | instid1(VALU_DEP_1)
	v_fma_f64 v[79:80], -v[79:80], v[89:90], v[91:92]
	s_wait_alu 0xfffd
	v_div_fmas_f64 v[79:80], v[79:80], v[81:82], v[89:90]
	s_delay_alu instid0(VALU_DEP_1) | instskip(NEXT) | instid1(VALU_DEP_1)
	v_div_fixup_f64 v[71:72], v[79:80], v[77:78], v[71:72]
	v_fma_f64 v[71:72], v[71:72], v[71:72], 1.0
	s_delay_alu instid0(VALU_DEP_1) | instskip(SKIP_2) | instid1(VALU_DEP_1)
	v_cmp_gt_f64_e32 vcc_lo, 0x10000000, v[71:72]
	s_wait_alu 0xfffd
	v_cndmask_b32_e64 v54, 0, 0x100, vcc_lo
	v_ldexp_f64 v[71:72], v[71:72], v54
	v_cndmask_b32_e64 v54, 0, 0xffffff80, vcc_lo
	s_delay_alu instid0(VALU_DEP_2) | instskip(SKIP_1) | instid1(TRANS32_DEP_1)
	v_rsq_f64_e32 v[79:80], v[71:72]
	v_cmp_class_f64_e64 vcc_lo, v[71:72], 0x260
	v_mul_f64_e32 v[81:82], v[71:72], v[79:80]
	v_mul_f64_e32 v[79:80], 0.5, v[79:80]
	s_delay_alu instid0(VALU_DEP_1) | instskip(NEXT) | instid1(VALU_DEP_1)
	v_fma_f64 v[89:90], -v[79:80], v[81:82], 0.5
	v_fma_f64 v[81:82], v[81:82], v[89:90], v[81:82]
	v_fma_f64 v[79:80], v[79:80], v[89:90], v[79:80]
	s_delay_alu instid0(VALU_DEP_2) | instskip(NEXT) | instid1(VALU_DEP_1)
	v_fma_f64 v[89:90], -v[81:82], v[81:82], v[71:72]
	v_fma_f64 v[81:82], v[89:90], v[79:80], v[81:82]
	s_delay_alu instid0(VALU_DEP_1) | instskip(NEXT) | instid1(VALU_DEP_1)
	v_fma_f64 v[89:90], -v[81:82], v[81:82], v[71:72]
	v_fma_f64 v[79:80], v[89:90], v[79:80], v[81:82]
	s_delay_alu instid0(VALU_DEP_1) | instskip(SKIP_1) | instid1(VALU_DEP_1)
	v_ldexp_f64 v[79:80], v[79:80], v54
	s_wait_alu 0xfffd
	v_dual_cndmask_b32 v72, v80, v72 :: v_dual_cndmask_b32 v71, v79, v71
	s_delay_alu instid0(VALU_DEP_1)
	v_mul_f64_e32 v[79:80], v[77:78], v[71:72]
.LBB10_10:                              ;   in Loop: Header=BB10_4 Depth=1
	s_wait_alu 0xfffe
	s_or_b32 exec_lo, exec_lo, s4
                                        ; implicit-def: $vgpr71_vgpr72
                                        ; implicit-def: $vgpr77_vgpr78
.LBB10_11:                              ;   in Loop: Header=BB10_4 Depth=1
	s_wait_alu 0xfffe
	s_and_not1_saveexec_b32 s3, s3
	s_cbranch_execz .LBB10_13
; %bb.12:                               ;   in Loop: Header=BB10_4 Depth=1
	v_div_scale_f64 v[79:80], null, v[71:72], v[71:72], v[77:78]
	v_div_scale_f64 v[91:92], vcc_lo, v[77:78], v[71:72], v[77:78]
	s_delay_alu instid0(VALU_DEP_2) | instskip(NEXT) | instid1(TRANS32_DEP_1)
	v_rcp_f64_e32 v[81:82], v[79:80]
	v_fma_f64 v[89:90], -v[79:80], v[81:82], 1.0
	s_delay_alu instid0(VALU_DEP_1) | instskip(NEXT) | instid1(VALU_DEP_1)
	v_fma_f64 v[81:82], v[81:82], v[89:90], v[81:82]
	v_fma_f64 v[89:90], -v[79:80], v[81:82], 1.0
	s_delay_alu instid0(VALU_DEP_1) | instskip(NEXT) | instid1(VALU_DEP_1)
	v_fma_f64 v[81:82], v[81:82], v[89:90], v[81:82]
	v_mul_f64_e32 v[89:90], v[91:92], v[81:82]
	s_delay_alu instid0(VALU_DEP_1) | instskip(SKIP_1) | instid1(VALU_DEP_1)
	v_fma_f64 v[79:80], -v[79:80], v[89:90], v[91:92]
	s_wait_alu 0xfffd
	v_div_fmas_f64 v[79:80], v[79:80], v[81:82], v[89:90]
	s_delay_alu instid0(VALU_DEP_1) | instskip(NEXT) | instid1(VALU_DEP_1)
	v_div_fixup_f64 v[77:78], v[79:80], v[71:72], v[77:78]
	v_fma_f64 v[77:78], v[77:78], v[77:78], 1.0
	s_delay_alu instid0(VALU_DEP_1) | instskip(SKIP_2) | instid1(VALU_DEP_1)
	v_cmp_gt_f64_e32 vcc_lo, 0x10000000, v[77:78]
	s_wait_alu 0xfffd
	v_cndmask_b32_e64 v54, 0, 0x100, vcc_lo
	v_ldexp_f64 v[77:78], v[77:78], v54
	v_cndmask_b32_e64 v54, 0, 0xffffff80, vcc_lo
	s_delay_alu instid0(VALU_DEP_2) | instskip(SKIP_1) | instid1(TRANS32_DEP_1)
	v_rsq_f64_e32 v[79:80], v[77:78]
	v_cmp_class_f64_e64 vcc_lo, v[77:78], 0x260
	v_mul_f64_e32 v[81:82], v[77:78], v[79:80]
	v_mul_f64_e32 v[79:80], 0.5, v[79:80]
	s_delay_alu instid0(VALU_DEP_1) | instskip(NEXT) | instid1(VALU_DEP_1)
	v_fma_f64 v[89:90], -v[79:80], v[81:82], 0.5
	v_fma_f64 v[81:82], v[81:82], v[89:90], v[81:82]
	v_fma_f64 v[79:80], v[79:80], v[89:90], v[79:80]
	s_delay_alu instid0(VALU_DEP_2) | instskip(NEXT) | instid1(VALU_DEP_1)
	v_fma_f64 v[89:90], -v[81:82], v[81:82], v[77:78]
	v_fma_f64 v[81:82], v[89:90], v[79:80], v[81:82]
	s_delay_alu instid0(VALU_DEP_1) | instskip(NEXT) | instid1(VALU_DEP_1)
	v_fma_f64 v[89:90], -v[81:82], v[81:82], v[77:78]
	v_fma_f64 v[79:80], v[89:90], v[79:80], v[81:82]
	s_delay_alu instid0(VALU_DEP_1) | instskip(SKIP_1) | instid1(VALU_DEP_1)
	v_ldexp_f64 v[79:80], v[79:80], v54
	s_wait_alu 0xfffd
	v_dual_cndmask_b32 v78, v80, v78 :: v_dual_cndmask_b32 v77, v79, v77
	s_delay_alu instid0(VALU_DEP_1)
	v_mul_f64_e32 v[79:80], v[71:72], v[77:78]
.LBB10_13:                              ;   in Loop: Header=BB10_4 Depth=1
	s_wait_alu 0xfffe
	s_or_b32 exec_lo, exec_lo, s3
	s_delay_alu instid0(VALU_DEP_1) | instskip(SKIP_1) | instid1(VALU_DEP_2)
	v_add_f64_e64 v[71:72], v[79:80], -v[69:70]
	v_add_f64_e32 v[69:70], v[69:70], v[79:80]
	v_mul_f64_e32 v[71:72], 0.5, v[71:72]
	s_delay_alu instid0(VALU_DEP_2) | instskip(NEXT) | instid1(VALU_DEP_2)
	v_mul_f64_e32 v[69:70], 0.5, v[69:70]
	v_cmp_gt_f64_e32 vcc_lo, 0x10000000, v[71:72]
	s_delay_alu instid0(VALU_DEP_2) | instskip(SKIP_2) | instid1(VALU_DEP_1)
	v_cmp_gt_f64_e64 s3, 0x10000000, v[69:70]
	s_wait_alu 0xfffd
	v_cndmask_b32_e64 v54, 0, 0x100, vcc_lo
	v_ldexp_f64 v[71:72], v[71:72], v54
	s_wait_alu 0xf1ff
	s_delay_alu instid0(VALU_DEP_3) | instskip(NEXT) | instid1(VALU_DEP_1)
	v_cndmask_b32_e64 v54, 0, 0x100, s3
	v_ldexp_f64 v[69:70], v[69:70], v54
	v_cndmask_b32_e64 v54, 0, 0xffffff80, vcc_lo
	s_delay_alu instid0(VALU_DEP_4) | instskip(SKIP_1) | instid1(VALU_DEP_3)
	v_rsq_f64_e32 v[77:78], v[71:72]
	v_cmp_class_f64_e64 vcc_lo, v[71:72], 0x260
	v_rsq_f64_e32 v[79:80], v[69:70]
	s_delay_alu instid0(TRANS32_DEP_2) | instskip(SKIP_1) | instid1(TRANS32_DEP_1)
	v_mul_f64_e32 v[81:82], v[71:72], v[77:78]
	v_mul_f64_e32 v[77:78], 0.5, v[77:78]
	v_mul_f64_e32 v[89:90], v[69:70], v[79:80]
	v_mul_f64_e32 v[79:80], 0.5, v[79:80]
	s_delay_alu instid0(VALU_DEP_3) | instskip(NEXT) | instid1(VALU_DEP_2)
	v_fma_f64 v[91:92], -v[77:78], v[81:82], 0.5
	v_fma_f64 v[93:94], -v[79:80], v[89:90], 0.5
	s_delay_alu instid0(VALU_DEP_2) | instskip(SKIP_1) | instid1(VALU_DEP_3)
	v_fma_f64 v[81:82], v[81:82], v[91:92], v[81:82]
	v_fma_f64 v[77:78], v[77:78], v[91:92], v[77:78]
	;; [unrolled: 1-line block ×4, first 2 shown]
	s_delay_alu instid0(VALU_DEP_4) | instskip(NEXT) | instid1(VALU_DEP_3)
	v_fma_f64 v[91:92], -v[81:82], v[81:82], v[71:72]
	v_fma_f64 v[93:94], -v[89:90], v[89:90], v[69:70]
	s_delay_alu instid0(VALU_DEP_2) | instskip(NEXT) | instid1(VALU_DEP_2)
	v_fma_f64 v[81:82], v[91:92], v[77:78], v[81:82]
	v_fma_f64 v[89:90], v[93:94], v[79:80], v[89:90]
	s_delay_alu instid0(VALU_DEP_2) | instskip(NEXT) | instid1(VALU_DEP_2)
	v_fma_f64 v[91:92], -v[81:82], v[81:82], v[71:72]
	v_fma_f64 v[93:94], -v[89:90], v[89:90], v[69:70]
	s_delay_alu instid0(VALU_DEP_2) | instskip(NEXT) | instid1(VALU_DEP_2)
	v_fma_f64 v[77:78], v[91:92], v[77:78], v[81:82]
	v_fma_f64 v[79:80], v[93:94], v[79:80], v[89:90]
	s_delay_alu instid0(VALU_DEP_2) | instskip(SKIP_2) | instid1(VALU_DEP_2)
	v_ldexp_f64 v[77:78], v[77:78], v54
	v_cndmask_b32_e64 v54, 0, 0xffffff80, s3
	v_cmp_class_f64_e64 s3, v[69:70], 0x260
	v_ldexp_f64 v[79:80], v[79:80], v54
	s_wait_alu 0xfffd
	s_delay_alu instid0(VALU_DEP_4) | instskip(NEXT) | instid1(VALU_DEP_1)
	v_dual_cndmask_b32 v77, v77, v71 :: v_dual_cndmask_b32 v54, v78, v72
                                        ; implicit-def: $vgpr71_vgpr72
	v_xor_b32_e32 v56, 0x80000000, v54
	s_wait_alu 0xf1ff
	s_delay_alu instid0(VALU_DEP_3) | instskip(NEXT) | instid1(VALU_DEP_4)
	v_cndmask_b32_e64 v80, v80, v70, s3
	v_cndmask_b32_e64 v79, v79, v69, s3
                                        ; implicit-def: $vgpr69_vgpr70
	s_delay_alu instid0(VALU_DEP_3)
	v_cndmask_b32_e64 v78, v54, v56, s2
	s_mov_b32 s2, exec_lo
	v_cmpx_nlt_f64_e32 0, v[45:46]
	s_wait_alu 0xfffe
	s_xor_b32 s2, exec_lo, s2
	s_cbranch_execz .LBB10_15
; %bb.14:                               ;   in Loop: Header=BB10_4 Depth=1
	v_add_f64_e64 v[69:70], v[45:46], -v[79:80]
	v_add_f64_e64 v[71:72], v[47:48], -v[77:78]
                                        ; implicit-def: $vgpr79_vgpr80
                                        ; implicit-def: $vgpr77_vgpr78
.LBB10_15:                              ;   in Loop: Header=BB10_4 Depth=1
	s_wait_alu 0xfffe
	s_and_not1_saveexec_b32 s2, s2
	s_cbranch_execz .LBB10_17
; %bb.16:                               ;   in Loop: Header=BB10_4 Depth=1
	v_add_f64_e32 v[69:70], v[45:46], v[79:80]
	v_add_f64_e32 v[71:72], v[47:48], v[77:78]
.LBB10_17:                              ;   in Loop: Header=BB10_4 Depth=1
	s_wait_alu 0xfffe
	s_or_b32 exec_lo, exec_lo, s2
	s_delay_alu instid0(VALU_DEP_1) | instskip(NEXT) | instid1(VALU_DEP_3)
	v_mul_f64_e32 v[77:78], v[71:72], v[71:72]
	v_mul_f64_e32 v[79:80], v[69:70], v[71:72]
	v_mul_f64_e64 v[113:114], v[71:72], -v[37:38]
	v_mul_f64_e32 v[123:124], v[43:44], v[71:72]
	s_delay_alu instid0(VALU_DEP_4) | instskip(SKIP_2) | instid1(VALU_DEP_3)
	v_fma_f64 v[81:82], v[69:70], v[69:70], v[77:78]
	v_mul_f64_e64 v[77:78], v[71:72], -v[71:72]
	v_fma_f64 v[97:98], v[71:72], v[69:70], v[79:80]
	v_div_scale_f64 v[79:80], null, v[81:82], v[81:82], 1.0
	s_delay_alu instid0(VALU_DEP_3) | instskip(NEXT) | instid1(VALU_DEP_3)
	v_fma_f64 v[99:100], v[69:70], v[69:70], v[77:78]
	v_add_f64_e32 v[101:102], v[75:76], v[97:98]
	s_delay_alu instid0(VALU_DEP_3) | instskip(NEXT) | instid1(VALU_DEP_2)
	v_rcp_f64_e32 v[75:76], v[79:80]
	v_add_f64_e32 v[103:104], v[73:74], v[99:100]
	s_delay_alu instid0(VALU_DEP_2) | instskip(NEXT) | instid1(TRANS32_DEP_1)
	v_mul_f64_e32 v[73:74], v[101:102], v[101:102]
	v_fma_f64 v[77:78], -v[79:80], v[75:76], 1.0
	s_delay_alu instid0(VALU_DEP_2) | instskip(SKIP_1) | instid1(VALU_DEP_1)
	v_fma_f64 v[105:106], v[103:104], v[103:104], v[73:74]
	v_add_nc_u32_e32 v73, s5, v88
	v_ashrrev_i32_e32 v74, 31, v73
	s_delay_alu instid0(VALU_DEP_1) | instskip(NEXT) | instid1(VALU_DEP_1)
	v_lshlrev_b64_e32 v[109:110], 4, v[73:74]
	v_add_co_u32 v111, vcc_lo, s8, v109
	s_wait_alu 0xfffd
	s_delay_alu instid0(VALU_DEP_2)
	v_add_co_ci_u32_e64 v112, null, s9, v110, vcc_lo
	v_div_scale_f64 v[93:94], vcc_lo, 1.0, v[81:82], 1.0
	v_fma_f64 v[77:78], v[75:76], v[77:78], v[75:76]
	v_div_scale_f64 v[107:108], null, v[105:106], v[105:106], 1.0
	global_load_b128 v[73:76], v[111:112], off
	v_fma_f64 v[89:90], -v[79:80], v[77:78], 1.0
	v_rcp_f64_e32 v[91:92], v[107:108]
	s_delay_alu instid0(VALU_DEP_1) | instskip(NEXT) | instid1(TRANS32_DEP_1)
	v_fma_f64 v[77:78], v[77:78], v[89:90], v[77:78]
	v_fma_f64 v[89:90], -v[107:108], v[91:92], 1.0
	s_delay_alu instid0(VALU_DEP_2) | instskip(NEXT) | instid1(VALU_DEP_2)
	v_mul_f64_e32 v[95:96], v[93:94], v[77:78]
	v_fma_f64 v[89:90], v[91:92], v[89:90], v[91:92]
	s_delay_alu instid0(VALU_DEP_2) | instskip(SKIP_2) | instid1(VALU_DEP_4)
	v_fma_f64 v[79:80], -v[79:80], v[95:96], v[93:94]
	v_mul_f64_e32 v[93:94], v[39:40], v[71:72]
	v_mul_f64_e64 v[71:72], v[71:72], -v[41:42]
	v_fma_f64 v[91:92], -v[107:108], v[89:90], 1.0
	s_wait_alu 0xfffd
	s_delay_alu instid0(VALU_DEP_4)
	v_div_fmas_f64 v[95:96], v[79:80], v[77:78], v[95:96]
	v_add_co_u32 v115, vcc_lo, s14, v51
	s_wait_alu 0xfffd
	v_add_co_ci_u32_e64 v116, null, s15, v52, vcc_lo
	v_div_scale_f64 v[117:118], vcc_lo, 1.0, v[105:106], 1.0
	v_fma_f64 v[119:120], v[89:90], v[91:92], v[89:90]
	global_load_b128 v[77:80], v[115:116], off
	v_fma_f64 v[93:94], v[37:38], v[69:70], v[93:94]
	v_div_fixup_f64 v[81:82], v[95:96], v[81:82], 1.0
	v_fma_f64 v[95:96], v[39:40], v[69:70], v[113:114]
	v_add_co_u32 v113, s2, s24, v51
	s_wait_alu 0xf1ff
	v_add_co_ci_u32_e64 v114, null, s25, v52, s2
	v_mul_f64_e32 v[51:52], 0x80000000, v[97:98]
	v_mul_f64_e32 v[121:122], v[117:118], v[119:120]
	v_add_f64_e32 v[97:98], v[97:98], v[97:98]
	global_load_b128 v[89:92], v[113:114], off
	v_mul_f64_e32 v[93:94], v[93:94], v[81:82]
	v_mul_f64_e32 v[95:96], v[95:96], v[81:82]
	v_fma_f64 v[125:126], v[99:100], 2.0, v[51:52]
	v_fma_f64 v[51:52], -v[107:108], v[121:122], v[117:118]
	v_fma_f64 v[107:108], v[41:42], v[69:70], v[123:124]
	v_fma_f64 v[69:70], v[43:44], v[69:70], v[71:72]
	;; [unrolled: 1-line block ×5, first 2 shown]
	v_mul_f64_e64 v[127:128], v[101:102], -v[125:126]
	s_wait_alu 0xfffd
	v_div_fmas_f64 v[119:120], v[51:52], v[119:120], v[121:122]
	v_add_co_u32 v121, vcc_lo, s8, v49
	s_wait_alu 0xfffd
	v_add_co_ci_u32_e64 v122, null, s9, v50, vcc_lo
	v_add_co_u32 v129, vcc_lo, s10, v109
	s_wait_alu 0xfffd
	v_add_co_ci_u32_e64 v130, null, s11, v110, vcc_lo
	v_mul_f64_e32 v[51:52], v[69:70], v[81:82]
	global_load_b128 v[69:72], v[121:122], off
	v_mul_f64_e32 v[49:50], v[107:108], v[81:82]
	global_load_b128 v[97:100], v[129:130], off
	s_wait_loadcnt 0x4
	v_fma_f64 v[107:108], v[95:96], v[13:14], v[75:76]
	v_fma_f64 v[81:82], -v[95:96], v[39:40], v[117:118]
	v_fma_f64 v[37:38], v[93:94], v[39:40], v[37:38]
	v_fma_f64 v[117:118], v[93:94], v[13:14], v[73:74]
	v_mul_f64_e32 v[39:40], v[101:102], v[123:124]
	v_fma_f64 v[101:102], v[123:124], v[103:104], v[127:128]
	v_div_fixup_f64 v[105:106], v[119:120], v[105:106], 1.0
	v_fma_f64 v[107:108], v[93:94], v[15:16], v[107:108]
	v_fma_f64 v[37:38], v[51:52], v[41:42], v[37:38]
	v_fma_f64 v[117:118], -v[95:96], v[15:16], v[117:118]
	v_fma_f64 v[41:42], v[49:50], v[41:42], v[81:82]
	v_fma_f64 v[39:40], v[125:126], v[103:104], v[39:40]
	v_fma_f64 v[125:126], v[93:94], v[93:94], 1.0
	v_fma_f64 v[81:82], v[51:52], v[25:26], v[107:108]
	v_mul_f64_e32 v[107:108], v[105:106], v[101:102]
	v_fma_f64 v[37:38], v[49:50], v[43:44], v[37:38]
	v_fma_f64 v[101:102], v[49:50], v[25:26], v[117:118]
	v_fma_f64 v[41:42], -v[51:52], v[43:44], v[41:42]
	v_fma_f64 v[43:44], v[49:50], v[27:28], v[81:82]
	v_mul_f64_e32 v[81:82], v[105:106], v[39:40]
	v_fma_f64 v[105:106], v[95:96], v[93:94], 0
	v_fma_f64 v[39:40], -v[51:52], v[27:28], v[101:102]
	v_mul_f64_e64 v[101:102], v[107:108], -v[37:38]
	v_mul_f64_e32 v[103:104], v[107:108], v[41:42]
	v_mul_f64_e64 v[117:118], v[107:108], -v[43:44]
	v_fma_f64 v[105:106], v[93:94], v[95:96], v[105:106]
	v_mul_f64_e32 v[119:120], v[107:108], v[39:40]
	v_fma_f64 v[41:42], v[41:42], v[81:82], v[101:102]
	v_fma_f64 v[103:104], v[37:38], v[81:82], v[103:104]
	;; [unrolled: 1-line block ×4, first 2 shown]
	s_wait_loadcnt 0x3
	v_fma_f64 v[123:124], v[95:96], v[21:22], v[79:80]
	v_fma_f64 v[117:118], v[93:94], v[21:22], v[77:78]
	;; [unrolled: 1-line block ×3, first 2 shown]
	v_add_f64_e64 v[101:102], v[45:46], -v[41:42]
	v_add_f64_e64 v[103:104], v[47:48], -v[103:104]
	v_fma_f64 v[119:120], -v[95:96], v[95:96], v[125:126]
	v_add_f64_e64 v[41:42], v[73:74], -v[37:38]
	v_fma_f64 v[105:106], v[49:50], v[51:52], v[105:106]
	v_fma_f64 v[47:48], v[93:94], v[23:24], v[123:124]
	s_wait_loadcnt 0x2
	v_fma_f64 v[45:46], v[95:96], v[17:18], v[91:92]
	v_fma_f64 v[73:74], v[93:94], v[17:18], v[89:90]
	v_add_f64_e64 v[43:44], v[75:76], -v[39:40]
	v_fma_f64 v[75:76], -v[95:96], v[23:24], v[117:118]
	v_fma_f64 v[125:126], -v[39:40], v[93:94], v[15:16]
	v_fma_f64 v[117:118], v[49:50], v[49:50], v[119:120]
	v_mul_f64_e32 v[119:120], v[105:106], v[105:106]
	v_fma_f64 v[47:48], v[51:52], v[33:34], v[47:48]
	v_fma_f64 v[45:46], v[93:94], v[19:20], v[45:46]
	v_fma_f64 v[73:74], -v[95:96], v[19:20], v[73:74]
	global_store_b128 v[111:112], v[41:44], off
	v_fma_f64 v[75:76], v[49:50], v[33:34], v[75:76]
	v_fma_f64 v[117:118], -v[51:52], v[51:52], v[117:118]
	v_fma_f64 v[47:48], v[49:50], v[35:36], v[47:48]
	v_fma_f64 v[45:46], v[51:52], v[29:30], v[45:46]
	s_wait_loadcnt 0x0
	v_fma_f64 v[41:42], v[95:96], v[69:70], v[99:100]
	v_fma_f64 v[43:44], v[93:94], v[69:70], v[97:98]
	;; [unrolled: 1-line block ×3, first 2 shown]
	v_fma_f64 v[73:74], -v[51:52], v[35:36], v[75:76]
	v_fma_f64 v[111:112], v[117:118], v[117:118], v[119:120]
	v_fma_f64 v[75:76], v[49:50], v[31:32], v[45:46]
	v_mul_f64_e64 v[45:46], v[107:108], -v[47:48]
	v_fma_f64 v[119:120], v[93:94], v[71:72], v[41:42]
	v_fma_f64 v[71:72], -v[95:96], v[71:72], v[43:44]
	v_fma_f64 v[69:70], -v[51:52], v[31:32], v[69:70]
	v_mul_f64_e32 v[43:44], v[107:108], v[73:74]
	v_mul_f64_e64 v[123:124], v[107:108], -v[75:76]
	v_fma_f64 v[41:42], v[73:74], v[81:82], v[45:46]
	v_div_scale_f64 v[73:74], null, v[111:112], v[111:112], 1.0
	v_fma_f64 v[71:72], v[49:50], v[5:6], v[71:72]
	v_fma_f64 v[45:46], v[47:48], v[81:82], v[43:44]
	v_mul_f64_e32 v[47:48], v[107:108], v[69:70]
	v_fma_f64 v[43:44], v[69:70], v[81:82], v[123:124]
	v_fma_f64 v[69:70], v[51:52], v[5:6], v[119:120]
	v_rcp_f64_e32 v[123:124], v[73:74]
	s_delay_alu instid0(VALU_DEP_3) | instskip(NEXT) | instid1(VALU_DEP_2)
	v_fma_f64 v[47:48], v[75:76], v[81:82], v[47:48]
	v_fma_f64 v[119:120], v[49:50], v[7:8], v[69:70]
	v_fma_f64 v[69:70], -v[51:52], v[7:8], v[71:72]
	s_delay_alu instid0(TRANS32_DEP_1) | instskip(NEXT) | instid1(VALU_DEP_4)
	v_fma_f64 v[75:76], -v[73:74], v[123:124], 1.0
	v_add_f64_e64 v[15:16], v[91:92], -v[47:48]
	s_delay_alu instid0(VALU_DEP_2) | instskip(SKIP_2) | instid1(VALU_DEP_2)
	v_fma_f64 v[71:72], v[123:124], v[75:76], v[123:124]
	v_mul_f64_e64 v[75:76], v[107:108], -v[119:120]
	v_mul_f64_e32 v[107:108], v[107:108], v[69:70]
	v_fma_f64 v[69:70], v[69:70], v[81:82], v[75:76]
	s_delay_alu instid0(VALU_DEP_4) | instskip(NEXT) | instid1(VALU_DEP_1)
	v_fma_f64 v[75:76], -v[73:74], v[71:72], 1.0
	v_fma_f64 v[123:124], v[71:72], v[75:76], v[71:72]
	v_div_scale_f64 v[75:76], vcc_lo, 1.0, v[111:112], 1.0
	v_fma_f64 v[71:72], v[119:120], v[81:82], v[107:108]
	v_add_co_u32 v119, s2, s6, v109
	s_wait_alu 0xf1ff
	v_add_co_ci_u32_e64 v120, null, s7, v110, s2
	s_delay_alu instid0(VALU_DEP_4) | instskip(NEXT) | instid1(VALU_DEP_1)
	v_mul_f64_e32 v[81:82], v[75:76], v[123:124]
	v_fma_f64 v[107:108], -v[73:74], v[81:82], v[75:76]
	global_load_b128 v[73:76], v[119:120], off
	s_wait_alu 0xfffd
	v_div_fmas_f64 v[81:82], v[107:108], v[123:124], v[81:82]
	s_and_not1_b32 vcc_lo, exec_lo, s27
	s_delay_alu instid0(VALU_DEP_1) | instskip(SKIP_2) | instid1(VALU_DEP_2)
	v_div_fixup_f64 v[81:82], v[81:82], v[111:112], 1.0
	v_mul_f64_e32 v[111:112], -2.0, v[105:106]
	v_mul_f64_e32 v[105:106], 0, v[105:106]
	v_fma_f64 v[111:112], v[117:118], 0, v[111:112]
	s_delay_alu instid0(VALU_DEP_2) | instskip(SKIP_4) | instid1(VALU_DEP_2)
	v_fma_f64 v[105:106], v[117:118], 2.0, v[105:106]
	v_fma_f64 v[117:118], -v[45:46], v[93:94], v[23:24]
	s_wait_loadcnt 0x0
	v_fma_f64 v[107:108], v[95:96], v[9:10], v[75:76]
	v_fma_f64 v[109:110], v[93:94], v[9:10], v[73:74]
	;; [unrolled: 1-line block ×3, first 2 shown]
	s_delay_alu instid0(VALU_DEP_2) | instskip(NEXT) | instid1(VALU_DEP_2)
	v_fma_f64 v[109:110], -v[95:96], v[11:12], v[109:110]
	v_fma_f64 v[107:108], v[51:52], v[1:2], v[107:108]
	s_delay_alu instid0(VALU_DEP_2) | instskip(NEXT) | instid1(VALU_DEP_2)
	v_fma_f64 v[109:110], v[49:50], v[1:2], v[109:110]
	v_fma_f64 v[123:124], v[49:50], v[3:4], v[107:108]
	v_mul_f64_e32 v[107:108], v[111:112], v[81:82]
	s_delay_alu instid0(VALU_DEP_3) | instskip(SKIP_2) | instid1(VALU_DEP_4)
	v_fma_f64 v[109:110], -v[51:52], v[3:4], v[109:110]
	v_mul_f64_e32 v[81:82], v[105:106], v[81:82]
	v_fma_f64 v[111:112], -v[41:42], v[93:94], v[21:22]
	v_mul_f64_e64 v[105:106], v[107:108], -v[123:124]
	s_delay_alu instid0(VALU_DEP_4) | instskip(NEXT) | instid1(VALU_DEP_2)
	v_mul_f64_e32 v[21:22], v[107:108], v[109:110]
	v_fma_f64 v[23:24], v[109:110], v[81:82], v[105:106]
	global_load_b128 v[105:108], v[121:122], off
	v_fma_f64 v[21:22], v[123:124], v[81:82], v[21:22]
	v_fma_f64 v[109:110], -v[47:48], v[93:94], v[19:20]
	v_fma_f64 v[81:82], -v[43:44], v[93:94], v[17:18]
	;; [unrolled: 1-line block ×3, first 2 shown]
	v_add_f64_e64 v[13:14], v[89:90], -v[43:44]
	v_add_f64_e64 v[17:18], v[97:98], -v[69:70]
	;; [unrolled: 1-line block ×3, first 2 shown]
	v_fma_f64 v[99:100], -v[37:38], v[95:96], v[125:126]
	v_fma_f64 v[127:128], -v[93:94], v[23:24], v[9:10]
	;; [unrolled: 1-line block ×3, first 2 shown]
	v_add_f64_e64 v[9:10], v[77:78], -v[41:42]
	v_add_f64_e64 v[11:12], v[79:80], -v[45:46]
	v_fma_f64 v[77:78], v[45:46], v[95:96], v[111:112]
	v_fma_f64 v[91:92], -v[43:44], v[95:96], v[109:110]
	v_add_f64_e64 v[73:74], v[73:74], -v[23:24]
	v_add_f64_e64 v[75:76], v[75:76], -v[21:22]
	v_fma_f64 v[79:80], -v[41:42], v[95:96], v[117:118]
	v_fma_f64 v[89:90], v[47:48], v[95:96], v[81:82]
	v_fma_f64 v[97:98], v[39:40], v[95:96], v[123:124]
	global_store_b128 v[67:68], v[101:104], off
	global_store_b128 v[115:116], v[9:12], off
	;; [unrolled: 1-line block ×9, first 2 shown]
	v_fma_f64 v[109:110], v[95:96], v[21:22], v[127:128]
	v_fma_f64 v[111:112], -v[93:94], v[21:22], v[131:132]
	s_wait_loadcnt 0x0
	v_fma_f64 v[105:106], -v[69:70], v[93:94], v[105:106]
	v_fma_f64 v[107:108], -v[71:72], v[93:94], v[107:108]
	s_delay_alu instid0(VALU_DEP_2) | instskip(NEXT) | instid1(VALU_DEP_2)
	v_fma_f64 v[105:106], v[71:72], v[95:96], v[105:106]
	v_fma_f64 v[107:108], -v[69:70], v[95:96], v[107:108]
	global_store_b128 v[121:122], v[105:108], off
	global_store_b128 v[63:64], v[109:112], off
	s_wait_alu 0xfffe
	s_cbranch_vccnz .LBB10_3
; %bb.18:                               ;   in Loop: Header=BB10_4 Depth=1
	v_fma_f64 v[9:10], -v[41:42], v[49:50], v[33:34]
	v_fma_f64 v[11:12], -v[45:46], v[49:50], v[35:36]
	;; [unrolled: 1-line block ×10, first 2 shown]
	v_ashrrev_i32_e32 v54, 31, v53
	v_ashrrev_i32_e32 v56, 31, v55
	v_fma_f64 v[1:2], v[45:46], v[51:52], v[9:10]
	v_fma_f64 v[3:4], -v[41:42], v[51:52], v[11:12]
	v_fma_f64 v[5:6], v[47:48], v[51:52], v[13:14]
	v_fma_f64 v[7:8], -v[43:44], v[51:52], v[15:16]
	;; [unrolled: 2-line block ×5, first 2 shown]
	v_lshlrev_b64_e32 v[21:22], 4, v[53:54]
	v_lshlrev_b64_e32 v[23:24], 4, v[55:56]
	s_delay_alu instid0(VALU_DEP_2) | instskip(SKIP_1) | instid1(VALU_DEP_3)
	v_add_co_u32 v25, vcc_lo, s16, v21
	s_wait_alu 0xfffd
	v_add_co_ci_u32_e64 v26, null, s17, v22, vcc_lo
	v_add_co_u32 v27, vcc_lo, s18, v21
	s_wait_alu 0xfffd
	v_add_co_ci_u32_e64 v28, null, s19, v22, vcc_lo
	;; [unrolled: 3-line block ×6, first 2 shown]
	global_store_b128 v[25:26], v[49:52], off
	global_store_b128 v[27:28], v[1:4], off
	;; [unrolled: 1-line block ×6, first 2 shown]
	s_branch .LBB10_3
.LBB10_19:
	s_cmp_lt_i32 s20, 1
	s_cbranch_scc1 .LBB10_32
; %bb.20:
	s_wait_loadcnt 0x0
	v_mad_co_u64_u32 v[1:2], null, s21, s23, v[0:1]
	s_load_b64 s[0:1], s[0:1], 0x38
	s_add_co_i32 s2, s20, 3
	s_wait_alu 0xfffe
	v_mad_co_u64_u32 v[2:3], null, s22, s2, v[0:1]
	s_add_co_i32 s2, s20, 2
	s_wait_alu 0xfffe
	v_mad_co_u64_u32 v[3:4], null, s22, s2, v[0:1]
	;; [unrolled: 3-line block ×3, first 2 shown]
	v_mad_co_u64_u32 v[5:6], null, s22, s20, v[0:1]
	v_mad_co_u64_u32 v[6:7], null, s22, s23, v[0:1]
	s_mov_b32 s2, s20
	s_branch .LBB10_22
.LBB10_21:                              ;   in Loop: Header=BB10_22 Depth=1
	v_lshlrev_b64_e32 v[23:24], 4, v[7:8]
	v_subrev_nc_u32_e32 v1, s21, v1
	v_subrev_nc_u32_e32 v2, s22, v2
	;; [unrolled: 1-line block ×5, first 2 shown]
	s_wait_kmcnt 0x0
	v_add_co_u32 v7, vcc_lo, s12, v23
	s_wait_alu 0xfffd
	v_add_co_ci_u32_e64 v8, null, s13, v24, vcc_lo
	v_add_co_u32 v13, vcc_lo, s6, v13
	s_wait_alu 0xfffd
	v_add_co_ci_u32_e64 v14, null, s7, v14, vcc_lo
	global_load_b128 v[15:18], v[7:8], off
	v_subrev_nc_u32_e32 v6, s22, v6
	s_add_co_i32 s2, s2, -1
	global_load_b128 v[19:22], v[13:14], off
	s_wait_alu 0xfffe
	s_cmp_gt_i32 s2, 0
	s_wait_loadcnt 0x1
	v_mul_f64_e32 v[7:8], v[17:18], v[17:18]
	s_wait_loadcnt 0x0
	v_add_f64_e64 v[9:10], v[21:22], -v[9:10]
	v_add_f64_e64 v[11:12], v[19:20], -v[11:12]
	s_delay_alu instid0(VALU_DEP_3) | instskip(NEXT) | instid1(VALU_DEP_3)
	v_fma_f64 v[7:8], v[15:16], v[15:16], v[7:8]
	v_mul_f64_e32 v[19:20], v[9:10], v[17:18]
	s_delay_alu instid0(VALU_DEP_3) | instskip(NEXT) | instid1(VALU_DEP_3)
	v_mul_f64_e64 v[17:18], v[17:18], -v[11:12]
	v_div_scale_f64 v[13:14], null, v[7:8], v[7:8], 1.0
	v_div_scale_f64 v[29:30], vcc_lo, 1.0, v[7:8], 1.0
	s_delay_alu instid0(VALU_DEP_4) | instskip(NEXT) | instid1(VALU_DEP_4)
	v_fma_f64 v[11:12], v[11:12], v[15:16], v[19:20]
	v_fma_f64 v[9:10], v[9:10], v[15:16], v[17:18]
	s_delay_alu instid0(VALU_DEP_4) | instskip(NEXT) | instid1(TRANS32_DEP_1)
	v_rcp_f64_e32 v[25:26], v[13:14]
	v_fma_f64 v[27:28], -v[13:14], v[25:26], 1.0
	s_delay_alu instid0(VALU_DEP_1) | instskip(NEXT) | instid1(VALU_DEP_1)
	v_fma_f64 v[25:26], v[25:26], v[27:28], v[25:26]
	v_fma_f64 v[27:28], -v[13:14], v[25:26], 1.0
	s_delay_alu instid0(VALU_DEP_1) | instskip(NEXT) | instid1(VALU_DEP_1)
	v_fma_f64 v[25:26], v[25:26], v[27:28], v[25:26]
	v_mul_f64_e32 v[27:28], v[29:30], v[25:26]
	s_delay_alu instid0(VALU_DEP_1) | instskip(SKIP_1) | instid1(VALU_DEP_1)
	v_fma_f64 v[13:14], -v[13:14], v[27:28], v[29:30]
	s_wait_alu 0xfffd
	v_div_fmas_f64 v[13:14], v[13:14], v[25:26], v[27:28]
	s_delay_alu instid0(VALU_DEP_1) | instskip(NEXT) | instid1(VALU_DEP_1)
	v_div_fixup_f64 v[13:14], v[13:14], v[7:8], 1.0
	v_mul_f64_e32 v[7:8], v[11:12], v[13:14]
	v_mul_f64_e32 v[9:10], v[9:10], v[13:14]
	v_add_co_u32 v11, vcc_lo, s0, v23
	s_wait_alu 0xfffd
	v_add_co_ci_u32_e64 v12, null, s1, v24, vcc_lo
	global_store_b128 v[11:12], v[7:10], off
	s_cbranch_scc0 .LBB10_32
.LBB10_22:                              ; =>This Inner Loop Header: Depth=1
	v_add_nc_u32_e32 v7, s5, v6
	v_mov_b32_e32 v9, 0
	v_dual_mov_b32 v11, 0 :: v_dual_mov_b32 v10, 0
	v_mov_b32_e32 v12, 0
	s_delay_alu instid0(VALU_DEP_4)
	v_ashrrev_i32_e32 v8, 31, v7
	s_wait_alu 0xfffe
	s_cmp_ge_i32 s2, s20
	s_cbranch_scc1 .LBB10_24
; %bb.23:                               ;   in Loop: Header=BB10_22 Depth=1
	v_add_nc_u32_e32 v9, s5, v5
	v_lshlrev_b64_e32 v[11:12], 4, v[7:8]
	s_delay_alu instid0(VALU_DEP_2) | instskip(SKIP_1) | instid1(VALU_DEP_2)
	v_ashrrev_i32_e32 v10, 31, v9
	s_wait_kmcnt 0x0
	v_add_co_u32 v11, vcc_lo, s14, v11
	s_wait_alu 0xfffd
	s_delay_alu instid0(VALU_DEP_3) | instskip(SKIP_1) | instid1(VALU_DEP_1)
	v_add_co_ci_u32_e64 v12, null, s15, v12, vcc_lo
	v_lshlrev_b64_e32 v[9:10], 4, v[9:10]
	v_add_co_u32 v13, vcc_lo, s0, v9
	s_wait_alu 0xfffd
	s_delay_alu instid0(VALU_DEP_2)
	v_add_co_ci_u32_e64 v14, null, s1, v10, vcc_lo
	global_load_b128 v[9:12], v[11:12], off
	global_load_b128 v[13:16], v[13:14], off
	s_wait_loadcnt 0x0
	v_mul_f64_e64 v[17:18], v[15:16], -v[11:12]
	v_mul_f64_e32 v[15:16], v[15:16], v[9:10]
	s_delay_alu instid0(VALU_DEP_2) | instskip(NEXT) | instid1(VALU_DEP_2)
	v_fma_f64 v[9:10], v[9:10], v[13:14], v[17:18]
	v_fma_f64 v[13:14], v[11:12], v[13:14], v[15:16]
	s_delay_alu instid0(VALU_DEP_2) | instskip(NEXT) | instid1(VALU_DEP_2)
	v_add_f64_e32 v[11:12], 0, v[9:10]
	v_add_f64_e32 v[9:10], 0, v[13:14]
.LBB10_24:                              ;   in Loop: Header=BB10_22 Depth=1
	s_add_co_i32 s3, s2, 1
	s_wait_alu 0xfffe
	s_cmp_ge_i32 s3, s20
	s_cbranch_scc1 .LBB10_26
; %bb.25:                               ;   in Loop: Header=BB10_22 Depth=1
	v_add_nc_u32_e32 v13, s5, v4
	v_lshlrev_b64_e32 v[15:16], 4, v[7:8]
	s_delay_alu instid0(VALU_DEP_2) | instskip(SKIP_1) | instid1(VALU_DEP_2)
	v_ashrrev_i32_e32 v14, 31, v13
	s_wait_kmcnt 0x0
	v_add_co_u32 v15, vcc_lo, s24, v15
	s_wait_alu 0xfffd
	s_delay_alu instid0(VALU_DEP_3) | instskip(SKIP_1) | instid1(VALU_DEP_1)
	v_add_co_ci_u32_e64 v16, null, s25, v16, vcc_lo
	v_lshlrev_b64_e32 v[13:14], 4, v[13:14]
	v_add_co_u32 v17, vcc_lo, s0, v13
	s_wait_alu 0xfffd
	s_delay_alu instid0(VALU_DEP_2)
	v_add_co_ci_u32_e64 v18, null, s1, v14, vcc_lo
	global_load_b128 v[13:16], v[15:16], off
	global_load_b128 v[17:20], v[17:18], off
	s_wait_loadcnt 0x0
	v_mul_f64_e64 v[21:22], v[19:20], -v[15:16]
	v_mul_f64_e32 v[19:20], v[19:20], v[13:14]
	s_delay_alu instid0(VALU_DEP_2) | instskip(NEXT) | instid1(VALU_DEP_2)
	v_fma_f64 v[13:14], v[13:14], v[17:18], v[21:22]
	v_fma_f64 v[15:16], v[15:16], v[17:18], v[19:20]
	s_delay_alu instid0(VALU_DEP_2) | instskip(NEXT) | instid1(VALU_DEP_2)
	v_add_f64_e32 v[11:12], v[11:12], v[13:14]
	v_add_f64_e32 v[9:10], v[9:10], v[15:16]
.LBB10_26:                              ;   in Loop: Header=BB10_22 Depth=1
	v_add_nc_u32_e32 v13, s5, v1
	s_add_co_i32 s3, s2, 2
	s_wait_alu 0xfffe
	s_cmp_lt_i32 s3, s20
	s_mov_b32 s3, -1
	s_cbranch_scc0 .LBB10_29
; %bb.27:                               ;   in Loop: Header=BB10_22 Depth=1
	s_wait_alu 0xfffe
	s_and_not1_b32 vcc_lo, exec_lo, s3
	s_wait_alu 0xfffe
	s_cbranch_vccz .LBB10_30
.LBB10_28:                              ;   in Loop: Header=BB10_22 Depth=1
	s_delay_alu instid0(VALU_DEP_1)
	v_lshlrev_b64_e32 v[13:14], 4, v[13:14]
	s_add_co_i32 s3, s2, 3
	s_wait_alu 0xfffe
	s_cmp_ge_i32 s3, s20
	s_cbranch_scc1 .LBB10_21
	s_branch .LBB10_31
.LBB10_29:                              ;   in Loop: Header=BB10_22 Depth=1
	v_ashrrev_i32_e32 v14, 31, v13
	s_cbranch_execnz .LBB10_28
.LBB10_30:                              ;   in Loop: Header=BB10_22 Depth=1
	v_add_nc_u32_e32 v15, s5, v3
	v_ashrrev_i32_e32 v14, 31, v13
	s_delay_alu instid0(VALU_DEP_2) | instskip(NEXT) | instid1(VALU_DEP_2)
	v_ashrrev_i32_e32 v16, 31, v15
	v_lshlrev_b64_e32 v[17:18], 4, v[13:14]
	s_delay_alu instid0(VALU_DEP_2) | instskip(SKIP_1) | instid1(VALU_DEP_2)
	v_lshlrev_b64_e32 v[15:16], 4, v[15:16]
	s_wait_kmcnt 0x0
	v_add_co_u32 v17, vcc_lo, s8, v17
	s_wait_alu 0xfffd
	s_delay_alu instid0(VALU_DEP_3) | instskip(NEXT) | instid1(VALU_DEP_3)
	v_add_co_ci_u32_e64 v18, null, s9, v18, vcc_lo
	v_add_co_u32 v19, vcc_lo, s0, v15
	s_wait_alu 0xfffd
	v_add_co_ci_u32_e64 v20, null, s1, v16, vcc_lo
	global_load_b128 v[15:18], v[17:18], off
	global_load_b128 v[19:22], v[19:20], off
	s_wait_loadcnt 0x0
	v_mul_f64_e64 v[23:24], v[21:22], -v[17:18]
	v_mul_f64_e32 v[21:22], v[21:22], v[15:16]
	s_delay_alu instid0(VALU_DEP_2) | instskip(NEXT) | instid1(VALU_DEP_2)
	v_fma_f64 v[15:16], v[15:16], v[19:20], v[23:24]
	v_fma_f64 v[17:18], v[17:18], v[19:20], v[21:22]
	s_delay_alu instid0(VALU_DEP_2) | instskip(NEXT) | instid1(VALU_DEP_2)
	v_add_f64_e32 v[11:12], v[11:12], v[15:16]
	v_add_f64_e32 v[9:10], v[9:10], v[17:18]
	v_lshlrev_b64_e32 v[13:14], 4, v[13:14]
	s_add_co_i32 s3, s2, 3
	s_wait_alu 0xfffe
	s_cmp_ge_i32 s3, s20
	s_cbranch_scc1 .LBB10_21
.LBB10_31:                              ;   in Loop: Header=BB10_22 Depth=1
	v_add_nc_u32_e32 v15, s5, v2
	s_wait_kmcnt 0x0
	v_add_co_u32 v17, vcc_lo, s10, v13
	s_wait_alu 0xfffd
	v_add_co_ci_u32_e64 v18, null, s11, v14, vcc_lo
	v_ashrrev_i32_e32 v16, 31, v15
	s_delay_alu instid0(VALU_DEP_1) | instskip(NEXT) | instid1(VALU_DEP_1)
	v_lshlrev_b64_e32 v[15:16], 4, v[15:16]
	v_add_co_u32 v19, vcc_lo, s0, v15
	s_wait_alu 0xfffd
	s_delay_alu instid0(VALU_DEP_2)
	v_add_co_ci_u32_e64 v20, null, s1, v16, vcc_lo
	global_load_b128 v[15:18], v[17:18], off
	global_load_b128 v[19:22], v[19:20], off
	s_wait_loadcnt 0x0
	v_mul_f64_e64 v[23:24], v[21:22], -v[17:18]
	v_mul_f64_e32 v[21:22], v[21:22], v[15:16]
	s_delay_alu instid0(VALU_DEP_2) | instskip(NEXT) | instid1(VALU_DEP_2)
	v_fma_f64 v[15:16], v[15:16], v[19:20], v[23:24]
	v_fma_f64 v[17:18], v[17:18], v[19:20], v[21:22]
	s_delay_alu instid0(VALU_DEP_2) | instskip(NEXT) | instid1(VALU_DEP_2)
	v_add_f64_e32 v[11:12], v[11:12], v[15:16]
	v_add_f64_e32 v[9:10], v[9:10], v[17:18]
	s_branch .LBB10_21
.LBB10_32:
	s_nop 0
	s_sendmsg sendmsg(MSG_DEALLOC_VGPRS)
	s_endpgm
	.section	.rodata,"a",@progbits
	.p2align	6, 0x0
	.amdhsa_kernel _ZN9rocsparseL44gpsv_interleaved_batch_householder_qr_kernelILj256E21rocsparse_complex_numIdEEEviiiPT0_S4_S4_S4_S4_S4_S4_S4_S4_
		.amdhsa_group_segment_fixed_size 0
		.amdhsa_private_segment_fixed_size 0
		.amdhsa_kernarg_size 344
		.amdhsa_user_sgpr_count 2
		.amdhsa_user_sgpr_dispatch_ptr 0
		.amdhsa_user_sgpr_queue_ptr 0
		.amdhsa_user_sgpr_kernarg_segment_ptr 1
		.amdhsa_user_sgpr_dispatch_id 0
		.amdhsa_user_sgpr_private_segment_size 0
		.amdhsa_wavefront_size32 1
		.amdhsa_uses_dynamic_stack 0
		.amdhsa_enable_private_segment 0
		.amdhsa_system_sgpr_workgroup_id_x 1
		.amdhsa_system_sgpr_workgroup_id_y 0
		.amdhsa_system_sgpr_workgroup_id_z 0
		.amdhsa_system_sgpr_workgroup_info 0
		.amdhsa_system_vgpr_workitem_id 0
		.amdhsa_next_free_vgpr 133
		.amdhsa_next_free_sgpr 29
		.amdhsa_reserve_vcc 1
		.amdhsa_float_round_mode_32 0
		.amdhsa_float_round_mode_16_64 0
		.amdhsa_float_denorm_mode_32 3
		.amdhsa_float_denorm_mode_16_64 3
		.amdhsa_fp16_overflow 0
		.amdhsa_workgroup_processor_mode 1
		.amdhsa_memory_ordered 1
		.amdhsa_forward_progress 1
		.amdhsa_inst_pref_size 44
		.amdhsa_round_robin_scheduling 0
		.amdhsa_exception_fp_ieee_invalid_op 0
		.amdhsa_exception_fp_denorm_src 0
		.amdhsa_exception_fp_ieee_div_zero 0
		.amdhsa_exception_fp_ieee_overflow 0
		.amdhsa_exception_fp_ieee_underflow 0
		.amdhsa_exception_fp_ieee_inexact 0
		.amdhsa_exception_int_div_zero 0
	.end_amdhsa_kernel
	.section	.text._ZN9rocsparseL44gpsv_interleaved_batch_householder_qr_kernelILj256E21rocsparse_complex_numIdEEEviiiPT0_S4_S4_S4_S4_S4_S4_S4_S4_,"axG",@progbits,_ZN9rocsparseL44gpsv_interleaved_batch_householder_qr_kernelILj256E21rocsparse_complex_numIdEEEviiiPT0_S4_S4_S4_S4_S4_S4_S4_S4_,comdat
.Lfunc_end10:
	.size	_ZN9rocsparseL44gpsv_interleaved_batch_householder_qr_kernelILj256E21rocsparse_complex_numIdEEEviiiPT0_S4_S4_S4_S4_S4_S4_S4_S4_, .Lfunc_end10-_ZN9rocsparseL44gpsv_interleaved_batch_householder_qr_kernelILj256E21rocsparse_complex_numIdEEEviiiPT0_S4_S4_S4_S4_S4_S4_S4_S4_
                                        ; -- End function
	.set _ZN9rocsparseL44gpsv_interleaved_batch_householder_qr_kernelILj256E21rocsparse_complex_numIdEEEviiiPT0_S4_S4_S4_S4_S4_S4_S4_S4_.num_vgpr, 133
	.set _ZN9rocsparseL44gpsv_interleaved_batch_householder_qr_kernelILj256E21rocsparse_complex_numIdEEEviiiPT0_S4_S4_S4_S4_S4_S4_S4_S4_.num_agpr, 0
	.set _ZN9rocsparseL44gpsv_interleaved_batch_householder_qr_kernelILj256E21rocsparse_complex_numIdEEEviiiPT0_S4_S4_S4_S4_S4_S4_S4_S4_.numbered_sgpr, 29
	.set _ZN9rocsparseL44gpsv_interleaved_batch_householder_qr_kernelILj256E21rocsparse_complex_numIdEEEviiiPT0_S4_S4_S4_S4_S4_S4_S4_S4_.num_named_barrier, 0
	.set _ZN9rocsparseL44gpsv_interleaved_batch_householder_qr_kernelILj256E21rocsparse_complex_numIdEEEviiiPT0_S4_S4_S4_S4_S4_S4_S4_S4_.private_seg_size, 0
	.set _ZN9rocsparseL44gpsv_interleaved_batch_householder_qr_kernelILj256E21rocsparse_complex_numIdEEEviiiPT0_S4_S4_S4_S4_S4_S4_S4_S4_.uses_vcc, 1
	.set _ZN9rocsparseL44gpsv_interleaved_batch_householder_qr_kernelILj256E21rocsparse_complex_numIdEEEviiiPT0_S4_S4_S4_S4_S4_S4_S4_S4_.uses_flat_scratch, 0
	.set _ZN9rocsparseL44gpsv_interleaved_batch_householder_qr_kernelILj256E21rocsparse_complex_numIdEEEviiiPT0_S4_S4_S4_S4_S4_S4_S4_S4_.has_dyn_sized_stack, 0
	.set _ZN9rocsparseL44gpsv_interleaved_batch_householder_qr_kernelILj256E21rocsparse_complex_numIdEEEviiiPT0_S4_S4_S4_S4_S4_S4_S4_S4_.has_recursion, 0
	.set _ZN9rocsparseL44gpsv_interleaved_batch_householder_qr_kernelILj256E21rocsparse_complex_numIdEEEviiiPT0_S4_S4_S4_S4_S4_S4_S4_S4_.has_indirect_call, 0
	.section	.AMDGPU.csdata,"",@progbits
; Kernel info:
; codeLenInByte = 5508
; TotalNumSgprs: 31
; NumVgprs: 133
; ScratchSize: 0
; MemoryBound: 1
; FloatMode: 240
; IeeeMode: 1
; LDSByteSize: 0 bytes/workgroup (compile time only)
; SGPRBlocks: 0
; VGPRBlocks: 16
; NumSGPRsForWavesPerEU: 31
; NumVGPRsForWavesPerEU: 133
; Occupancy: 10
; WaveLimiterHint : 0
; COMPUTE_PGM_RSRC2:SCRATCH_EN: 0
; COMPUTE_PGM_RSRC2:USER_SGPR: 2
; COMPUTE_PGM_RSRC2:TRAP_HANDLER: 0
; COMPUTE_PGM_RSRC2:TGID_X_EN: 1
; COMPUTE_PGM_RSRC2:TGID_Y_EN: 0
; COMPUTE_PGM_RSRC2:TGID_Z_EN: 0
; COMPUTE_PGM_RSRC2:TIDIG_COMP_CNT: 0
	.section	.text._ZN9rocsparseL39gpsv_interleaved_batch_givens_qr_kernelILj128E21rocsparse_complex_numIdEEEviiiPT0_S4_S4_S4_S4_S4_S4_S4_,"axG",@progbits,_ZN9rocsparseL39gpsv_interleaved_batch_givens_qr_kernelILj128E21rocsparse_complex_numIdEEEviiiPT0_S4_S4_S4_S4_S4_S4_S4_,comdat
	.globl	_ZN9rocsparseL39gpsv_interleaved_batch_givens_qr_kernelILj128E21rocsparse_complex_numIdEEEviiiPT0_S4_S4_S4_S4_S4_S4_S4_ ; -- Begin function _ZN9rocsparseL39gpsv_interleaved_batch_givens_qr_kernelILj128E21rocsparse_complex_numIdEEEviiiPT0_S4_S4_S4_S4_S4_S4_S4_
	.p2align	8
	.type	_ZN9rocsparseL39gpsv_interleaved_batch_givens_qr_kernelILj128E21rocsparse_complex_numIdEEEviiiPT0_S4_S4_S4_S4_S4_S4_S4_,@function
_ZN9rocsparseL39gpsv_interleaved_batch_givens_qr_kernelILj128E21rocsparse_complex_numIdEEEviiiPT0_S4_S4_S4_S4_S4_S4_S4_: ; @_ZN9rocsparseL39gpsv_interleaved_batch_givens_qr_kernelILj128E21rocsparse_complex_numIdEEEviiiPT0_S4_S4_S4_S4_S4_S4_S4_
; %bb.0:
	s_load_b96 s[16:18], s[0:1], 0x0
	s_lshl_b32 s19, ttmp9, 7
	s_mov_b32 s2, exec_lo
	v_or_b32_e32 v41, s19, v0
	s_wait_kmcnt 0x0
	s_delay_alu instid0(VALU_DEP_1)
	v_cmpx_gt_i32_e64 s17, v41
	s_cbranch_execz .LBB11_25
; %bb.1:
	s_clause 0x2
	s_load_b64 s[2:3], s[0:1], 0x48
	s_load_b128 s[12:15], s[0:1], 0x38
	s_load_b256 s[4:11], s[0:1], 0x18
	s_add_co_i32 s20, s16, -2
	s_cmp_lt_i32 s16, 3
	s_cbranch_scc1 .LBB11_16
; %bb.2:
	s_load_b64 s[0:1], s[0:1], 0x10
	v_dual_mov_b32 v56, v41 :: v_dual_mov_b32 v55, v41
	s_lshl_b32 s21, s18, 1
	s_mov_b32 s22, s20
	s_branch .LBB11_4
.LBB11_3:                               ;   in Loop: Header=BB11_4 Depth=1
	s_or_b32 exec_lo, exec_lo, s23
	s_delay_alu instid0(VALU_DEP_1) | instskip(SKIP_2) | instid1(SALU_CYCLE_1)
	v_cmp_gt_f64_e32 vcc_lo, 0x10000000, v[51:52]
	v_mul_f64_e32 v[78:79], 0x80000000, v[13:14]
	s_add_co_i32 s22, s22, -1
	s_cmp_eq_u32 s22, 0
	s_wait_alu 0xfffd
	v_cndmask_b32_e64 v40, 0, 0x100, vcc_lo
	s_delay_alu instid0(VALU_DEP_1) | instskip(SKIP_1) | instid1(VALU_DEP_2)
	v_ldexp_f64 v[51:52], v[51:52], v40
	v_cndmask_b32_e64 v40, 0, 0xffffff80, vcc_lo
	v_rsq_f64_e32 v[53:54], v[51:52]
	v_cmp_class_f64_e64 vcc_lo, v[51:52], 0x260
	s_delay_alu instid0(TRANS32_DEP_1) | instskip(SKIP_1) | instid1(VALU_DEP_1)
	v_mul_f64_e32 v[57:58], v[51:52], v[53:54]
	v_mul_f64_e32 v[53:54], 0.5, v[53:54]
	v_fma_f64 v[59:60], -v[53:54], v[57:58], 0.5
	s_delay_alu instid0(VALU_DEP_1) | instskip(SKIP_1) | instid1(VALU_DEP_2)
	v_fma_f64 v[57:58], v[57:58], v[59:60], v[57:58]
	v_fma_f64 v[53:54], v[53:54], v[59:60], v[53:54]
	v_fma_f64 v[59:60], -v[57:58], v[57:58], v[51:52]
	s_delay_alu instid0(VALU_DEP_1) | instskip(NEXT) | instid1(VALU_DEP_1)
	v_fma_f64 v[57:58], v[59:60], v[53:54], v[57:58]
	v_fma_f64 v[59:60], -v[57:58], v[57:58], v[51:52]
	s_delay_alu instid0(VALU_DEP_1) | instskip(NEXT) | instid1(VALU_DEP_1)
	v_fma_f64 v[53:54], v[59:60], v[53:54], v[57:58]
	v_ldexp_f64 v[53:54], v[53:54], v40
	s_wait_alu 0xfffd
	s_delay_alu instid0(VALU_DEP_1) | instskip(NEXT) | instid1(VALU_DEP_1)
	v_dual_cndmask_b32 v58, v54, v52 :: v_dual_cndmask_b32 v57, v53, v51
	v_fma_f64 v[59:60], v[57:58], v[57:58], 0
	s_delay_alu instid0(VALU_DEP_1) | instskip(SKIP_1) | instid1(VALU_DEP_2)
	v_div_scale_f64 v[51:52], null, v[59:60], v[59:60], 1.0
	v_div_scale_f64 v[74:75], vcc_lo, 1.0, v[59:60], 1.0
	v_rcp_f64_e32 v[53:54], v[51:52]
	s_delay_alu instid0(TRANS32_DEP_1) | instskip(NEXT) | instid1(VALU_DEP_1)
	v_fma_f64 v[72:73], -v[51:52], v[53:54], 1.0
	v_fma_f64 v[53:54], v[53:54], v[72:73], v[53:54]
	s_delay_alu instid0(VALU_DEP_1) | instskip(NEXT) | instid1(VALU_DEP_1)
	v_fma_f64 v[72:73], -v[51:52], v[53:54], 1.0
	v_fma_f64 v[72:73], v[53:54], v[72:73], v[53:54]
	s_delay_alu instid0(VALU_DEP_1) | instskip(NEXT) | instid1(VALU_DEP_1)
	v_mul_f64_e32 v[76:77], v[74:75], v[72:73]
	v_fma_f64 v[74:75], -v[51:52], v[76:77], v[74:75]
	global_load_b128 v[51:54], v[49:50], off
	s_wait_alu 0xfffd
	v_div_fmas_f64 v[72:73], v[74:75], v[72:73], v[76:77]
	v_mul_f64_e32 v[74:75], 0x80000000, v[15:16]
	v_fma_f64 v[76:77], -v[15:16], v[57:58], v[78:79]
	v_mul_f64_e32 v[78:79], 0x80000000, v[35:36]
	v_add_co_u32 v64, vcc_lo, s2, v64
	s_wait_alu 0xfffd
	v_add_co_ci_u32_e64 v65, null, s3, v65, vcc_lo
	v_div_fixup_f64 v[59:60], v[72:73], v[59:60], 1.0
	v_mul_f64_e32 v[72:73], 0x80000000, v[33:34]
	v_fma_f64 v[74:75], v[13:14], v[57:58], v[74:75]
	s_delay_alu instid0(VALU_DEP_3) | instskip(NEXT) | instid1(VALU_DEP_3)
	v_mul_f64_e32 v[80:81], v[76:77], v[59:60]
	v_fma_f64 v[72:73], -v[35:36], v[57:58], v[72:73]
	v_fma_f64 v[57:58], v[33:34], v[57:58], v[78:79]
	s_delay_alu instid0(VALU_DEP_4) | instskip(NEXT) | instid1(VALU_DEP_4)
	v_mul_f64_e32 v[74:75], v[74:75], v[59:60]
	v_mul_f64_e64 v[76:77], v[80:81], -v[15:16]
	v_mul_f64_e32 v[78:79], v[13:14], v[80:81]
	v_mul_f64_e32 v[82:83], v[72:73], v[59:60]
	;; [unrolled: 1-line block ×3, first 2 shown]
	v_mul_f64_e64 v[92:93], v[80:81], -v[3:4]
	v_mul_f64_e32 v[94:95], v[1:2], v[80:81]
	v_fma_f64 v[13:14], v[13:14], v[74:75], v[76:77]
	v_fma_f64 v[15:16], v[15:16], v[74:75], v[78:79]
	v_mul_f64_e32 v[57:58], v[11:12], v[82:83]
	v_mul_f64_e64 v[59:60], v[9:10], -v[82:83]
	v_mul_f64_e64 v[76:77], v[80:81], -v[11:12]
	v_mul_f64_e32 v[78:79], v[9:10], v[80:81]
	v_mul_f64_e32 v[88:89], v[3:4], v[82:83]
	v_mul_f64_e64 v[90:91], v[1:2], -v[82:83]
	v_fma_f64 v[84:85], v[33:34], v[72:73], v[13:14]
	v_fma_f64 v[86:87], v[35:36], v[72:73], v[15:16]
	;; [unrolled: 1-line block ×6, first 2 shown]
	v_mul_f64_e32 v[76:77], v[31:32], v[82:83]
	v_mul_f64_e64 v[78:79], v[29:30], -v[82:83]
	v_fma_f64 v[57:58], -v[35:36], v[82:83], v[84:85]
	v_fma_f64 v[59:60], v[33:34], v[82:83], v[86:87]
	v_mul_f64_e64 v[33:34], v[80:81], -v[31:32]
	v_mul_f64_e32 v[35:36], v[29:30], v[80:81]
	v_mul_f64_e32 v[84:85], v[23:24], v[82:83]
	v_fma_f64 v[86:87], v[1:2], v[72:73], v[88:89]
	v_fma_f64 v[1:2], v[1:2], v[74:75], v[92:93]
	v_mul_f64_e64 v[92:93], v[80:81], -v[23:24]
	v_fma_f64 v[88:89], v[3:4], v[72:73], v[90:91]
	v_mul_f64_e64 v[90:91], v[21:22], -v[82:83]
	v_fma_f64 v[76:77], v[29:30], v[72:73], v[76:77]
	v_fma_f64 v[78:79], v[31:32], v[72:73], v[78:79]
	;; [unrolled: 1-line block ×5, first 2 shown]
	v_mul_f64_e32 v[33:34], v[21:22], v[80:81]
	v_fma_f64 v[84:85], v[21:22], v[72:73], v[84:85]
	v_fma_f64 v[21:22], v[21:22], v[74:75], v[92:93]
	;; [unrolled: 1-line block ×3, first 2 shown]
	s_wait_loadcnt 0x2
	v_fma_f64 v[94:95], v[27:28], v[72:73], v[3:4]
	s_wait_loadcnt 0x0
	v_mul_f64_e64 v[35:36], v[80:81], -v[53:54]
	v_mul_f64_e32 v[92:93], v[82:83], v[53:54]
	v_fma_f64 v[96:97], v[17:18], v[72:73], v[29:30]
	v_fma_f64 v[98:99], v[19:20], v[72:73], v[31:32]
	v_fma_f64 v[23:24], v[23:24], v[74:75], v[33:34]
	v_mul_f64_e32 v[33:34], v[80:81], v[51:52]
	v_fma_f64 v[31:32], -v[17:18], v[74:75], v[76:77]
	v_fma_f64 v[100:101], v[5:6], v[72:73], v[21:22]
	v_fma_f64 v[21:22], -v[25:26], v[74:75], v[86:87]
	v_fma_f64 v[76:77], -v[7:8], v[74:75], v[90:91]
	v_fma_f64 v[29:30], v[25:26], v[82:83], v[94:95]
	v_fma_f64 v[35:36], v[51:52], v[74:75], v[35:36]
	;; [unrolled: 1-line block ×3, first 2 shown]
	v_mul_f64_e64 v[51:52], v[51:52], -v[82:83]
	v_fma_f64 v[102:103], v[7:8], v[72:73], v[23:24]
	v_fma_f64 v[33:34], v[53:54], v[74:75], v[33:34]
	v_fma_f64 v[23:24], -v[27:28], v[74:75], v[88:89]
	v_fma_f64 v[31:32], v[19:20], -v[80:81], v[31:32]
	v_fma_f64 v[21:22], v[27:28], -v[80:81], v[21:22]
	v_fma_f64 v[51:52], v[53:54], v[72:73], v[51:52]
	v_fma_f64 v[53:54], v[25:26], v[72:73], v[1:2]
	global_load_b128 v[1:4], v[64:65], off
	v_fma_f64 v[23:24], v[25:26], v[80:81], v[23:24]
	v_fma_f64 v[27:28], -v[27:28], v[82:83], v[53:54]
	v_fma_f64 v[53:54], v[17:18], v[82:83], v[98:99]
	s_wait_loadcnt 0x0
	v_fma_f64 v[104:105], v[3:4], v[72:73], v[33:34]
	v_fma_f64 v[33:34], -v[19:20], v[74:75], v[78:79]
	v_fma_f64 v[35:36], v[1:2], v[72:73], v[35:36]
	v_fma_f64 v[72:73], -v[5:6], v[74:75], v[84:85]
	v_fma_f64 v[78:79], -v[1:2], v[74:75], v[92:93]
	;; [unrolled: 1-line block ×4, first 2 shown]
	v_fma_f64 v[19:20], v[5:6], v[80:81], v[76:77]
	v_fma_f64 v[74:75], v[5:6], v[82:83], v[102:103]
	;; [unrolled: 1-line block ×3, first 2 shown]
	v_fma_f64 v[5:6], -v[3:4], v[82:83], v[35:36]
	v_fma_f64 v[17:18], v[7:8], -v[80:81], v[72:73]
	v_fma_f64 v[72:73], -v[7:8], v[82:83], v[100:101]
	v_fma_f64 v[7:8], v[1:2], v[82:83], v[104:105]
	v_fma_f64 v[76:77], v[3:4], -v[80:81], v[78:79]
	v_fma_f64 v[78:79], v[1:2], v[80:81], v[84:85]
	v_add_co_u32 v1, vcc_lo, s14, v55
	s_wait_alu 0xfffd
	v_add_co_ci_u32_e64 v2, null, s15, v56, vcc_lo
	v_dual_mov_b32 v56, v42 :: v_dual_mov_b32 v55, v39
	global_store_b128 v[1:2], v[9:12], off
	s_clause 0x1
	global_store_b128 v[37:38], v[57:60], off
	global_store_b128 v[43:44], v[21:24], off
	s_clause 0x1
	global_store_b128 v[66:67], v[27:30], off
	;; [unrolled: 3-line block ×5, first 2 shown]
	global_store_b128 v[49:50], v[76:79], off
	s_cbranch_scc1 .LBB11_16
.LBB11_4:                               ; =>This Inner Loop Header: Depth=1
	s_delay_alu instid0(VALU_DEP_1) | instskip(SKIP_2) | instid1(VALU_DEP_2)
	v_add_nc_u32_e32 v1, s21, v56
	v_add_nc_u32_e32 v42, s18, v56
	s_mov_b32 s23, exec_lo
                                        ; implicit-def: $vgpr66_vgpr67
	v_ashrrev_i32_e32 v2, 31, v1
	s_delay_alu instid0(VALU_DEP_2) | instskip(NEXT) | instid1(VALU_DEP_2)
	v_ashrrev_i32_e32 v43, 31, v42
	v_lshlrev_b64_e32 v[15:16], 4, v[1:2]
	s_delay_alu instid0(VALU_DEP_2) | instskip(SKIP_1) | instid1(VALU_DEP_2)
	v_lshlrev_b64_e32 v[13:14], 4, v[42:43]
	s_wait_kmcnt 0x0
	v_add_co_u32 v1, vcc_lo, s0, v15
	s_wait_alu 0xfffd
	s_delay_alu instid0(VALU_DEP_3) | instskip(NEXT) | instid1(VALU_DEP_3)
	v_add_co_ci_u32_e64 v2, null, s1, v16, vcc_lo
	v_add_co_u32 v51, vcc_lo, s4, v13
	s_wait_alu 0xfffd
	v_add_co_ci_u32_e64 v52, null, s5, v14, vcc_lo
	global_load_b128 v[1:4], v[1:2], off
	v_add_co_u32 v53, vcc_lo, s4, v15
	global_load_b128 v[37:40], v[51:52], off
	s_wait_alu 0xfffd
	v_add_co_ci_u32_e64 v54, null, s5, v16, vcc_lo
	v_add_co_u32 v43, vcc_lo, s6, v13
	s_wait_alu 0xfffd
	v_add_co_ci_u32_e64 v44, null, s7, v14, vcc_lo
	v_add_co_u32 v62, vcc_lo, s6, v15
	;; [unrolled: 3-line block ×6, first 2 shown]
	s_wait_alu 0xfffd
	v_add_co_ci_u32_e64 v61, null, s11, v16, vcc_lo
	global_load_b128 v[25:28], v[53:54], off
	s_clause 0x1
	global_load_b128 v[5:8], v[43:44], off
	global_load_b128 v[33:36], v[62:63], off
	s_clause 0x1
	global_load_b128 v[21:24], v[45:46], off
	global_load_b128 v[29:32], v[58:59], off
	s_clause 0x1
	global_load_b128 v[17:20], v[47:48], off
	global_load_b128 v[9:12], v[60:61], off
	s_wait_loadcnt 0x8
	v_mul_f64_e64 v[49:50], v[1:2], -v[3:4]
	v_mul_f64_e32 v[64:65], v[3:4], v[3:4]
	s_delay_alu instid0(VALU_DEP_2) | instskip(NEXT) | instid1(VALU_DEP_2)
	v_fma_f64 v[49:50], v[3:4], v[1:2], v[49:50]
	v_fma_f64 v[64:65], v[1:2], v[1:2], v[64:65]
	s_wait_loadcnt 0x7
	s_delay_alu instid0(VALU_DEP_2) | instskip(NEXT) | instid1(VALU_DEP_2)
	v_fma_f64 v[49:50], v[39:40], v[37:38], v[49:50]
	v_fma_f64 v[64:65], v[37:38], v[37:38], v[64:65]
	s_delay_alu instid0(VALU_DEP_2) | instskip(NEXT) | instid1(VALU_DEP_2)
	v_fma_f64 v[68:69], v[37:38], -v[39:40], v[49:50]
	v_fma_f64 v[49:50], v[39:40], v[39:40], v[64:65]
	s_delay_alu instid0(VALU_DEP_2) | instskip(SKIP_2) | instid1(VALU_DEP_1)
	v_cmp_gt_f64_e32 vcc_lo, 0, v[68:69]
	v_xor_b32_e32 v57, 0x80000000, v69
	s_wait_alu 0xfffd
	v_dual_mov_b32 v64, v68 :: v_dual_cndmask_b32 v65, v69, v57
	s_delay_alu instid0(VALU_DEP_1)
	v_cmpx_ngt_f64_e32 v[49:50], v[64:65]
	s_xor_b32 s23, exec_lo, s23
	s_cbranch_execz .LBB11_8
; %bb.5:                                ;   in Loop: Header=BB11_4 Depth=1
	v_mov_b32_e32 v66, 0
	v_mov_b32_e32 v67, 0
	s_mov_b32 s24, exec_lo
	v_cmpx_neq_f64_e32 0, v[68:69]
	s_cbranch_execz .LBB11_7
; %bb.6:                                ;   in Loop: Header=BB11_4 Depth=1
	v_div_scale_f64 v[66:67], null, v[64:65], v[64:65], v[49:50]
	v_div_scale_f64 v[72:73], vcc_lo, v[49:50], v[64:65], v[49:50]
	s_delay_alu instid0(VALU_DEP_2) | instskip(NEXT) | instid1(TRANS32_DEP_1)
	v_rcp_f64_e32 v[68:69], v[66:67]
	v_fma_f64 v[70:71], -v[66:67], v[68:69], 1.0
	s_delay_alu instid0(VALU_DEP_1) | instskip(NEXT) | instid1(VALU_DEP_1)
	v_fma_f64 v[68:69], v[68:69], v[70:71], v[68:69]
	v_fma_f64 v[70:71], -v[66:67], v[68:69], 1.0
	s_delay_alu instid0(VALU_DEP_1) | instskip(NEXT) | instid1(VALU_DEP_1)
	v_fma_f64 v[68:69], v[68:69], v[70:71], v[68:69]
	v_mul_f64_e32 v[70:71], v[72:73], v[68:69]
	s_delay_alu instid0(VALU_DEP_1) | instskip(SKIP_1) | instid1(VALU_DEP_1)
	v_fma_f64 v[66:67], -v[66:67], v[70:71], v[72:73]
	s_wait_alu 0xfffd
	v_div_fmas_f64 v[66:67], v[66:67], v[68:69], v[70:71]
	s_delay_alu instid0(VALU_DEP_1) | instskip(NEXT) | instid1(VALU_DEP_1)
	v_div_fixup_f64 v[49:50], v[66:67], v[64:65], v[49:50]
	v_fma_f64 v[49:50], v[49:50], v[49:50], 1.0
	s_delay_alu instid0(VALU_DEP_1) | instskip(SKIP_2) | instid1(VALU_DEP_1)
	v_cmp_gt_f64_e32 vcc_lo, 0x10000000, v[49:50]
	s_wait_alu 0xfffd
	v_cndmask_b32_e64 v57, 0, 0x100, vcc_lo
	v_ldexp_f64 v[49:50], v[49:50], v57
	v_cndmask_b32_e64 v57, 0, 0xffffff80, vcc_lo
	s_delay_alu instid0(VALU_DEP_2) | instskip(SKIP_1) | instid1(TRANS32_DEP_1)
	v_rsq_f64_e32 v[66:67], v[49:50]
	v_cmp_class_f64_e64 vcc_lo, v[49:50], 0x260
	v_mul_f64_e32 v[68:69], v[49:50], v[66:67]
	v_mul_f64_e32 v[66:67], 0.5, v[66:67]
	s_delay_alu instid0(VALU_DEP_1) | instskip(NEXT) | instid1(VALU_DEP_1)
	v_fma_f64 v[70:71], -v[66:67], v[68:69], 0.5
	v_fma_f64 v[68:69], v[68:69], v[70:71], v[68:69]
	v_fma_f64 v[66:67], v[66:67], v[70:71], v[66:67]
	s_delay_alu instid0(VALU_DEP_2) | instskip(NEXT) | instid1(VALU_DEP_1)
	v_fma_f64 v[70:71], -v[68:69], v[68:69], v[49:50]
	v_fma_f64 v[68:69], v[70:71], v[66:67], v[68:69]
	s_delay_alu instid0(VALU_DEP_1) | instskip(NEXT) | instid1(VALU_DEP_1)
	v_fma_f64 v[70:71], -v[68:69], v[68:69], v[49:50]
	v_fma_f64 v[66:67], v[70:71], v[66:67], v[68:69]
	s_delay_alu instid0(VALU_DEP_1) | instskip(SKIP_1) | instid1(VALU_DEP_1)
	v_ldexp_f64 v[66:67], v[66:67], v57
	s_wait_alu 0xfffd
	v_dual_cndmask_b32 v50, v67, v50 :: v_dual_cndmask_b32 v49, v66, v49
	s_delay_alu instid0(VALU_DEP_1)
	v_mul_f64_e32 v[66:67], v[64:65], v[49:50]
.LBB11_7:                               ;   in Loop: Header=BB11_4 Depth=1
	s_or_b32 exec_lo, exec_lo, s24
                                        ; implicit-def: $vgpr49_vgpr50
                                        ; implicit-def: $vgpr64_vgpr65
.LBB11_8:                               ;   in Loop: Header=BB11_4 Depth=1
	s_and_not1_saveexec_b32 s23, s23
	s_cbranch_execz .LBB11_10
; %bb.9:                                ;   in Loop: Header=BB11_4 Depth=1
	v_div_scale_f64 v[66:67], null, v[49:50], v[49:50], v[64:65]
	v_div_scale_f64 v[72:73], vcc_lo, v[64:65], v[49:50], v[64:65]
	s_delay_alu instid0(VALU_DEP_2) | instskip(NEXT) | instid1(TRANS32_DEP_1)
	v_rcp_f64_e32 v[68:69], v[66:67]
	v_fma_f64 v[70:71], -v[66:67], v[68:69], 1.0
	s_delay_alu instid0(VALU_DEP_1) | instskip(NEXT) | instid1(VALU_DEP_1)
	v_fma_f64 v[68:69], v[68:69], v[70:71], v[68:69]
	v_fma_f64 v[70:71], -v[66:67], v[68:69], 1.0
	s_delay_alu instid0(VALU_DEP_1) | instskip(NEXT) | instid1(VALU_DEP_1)
	v_fma_f64 v[68:69], v[68:69], v[70:71], v[68:69]
	v_mul_f64_e32 v[70:71], v[72:73], v[68:69]
	s_delay_alu instid0(VALU_DEP_1) | instskip(SKIP_1) | instid1(VALU_DEP_1)
	v_fma_f64 v[66:67], -v[66:67], v[70:71], v[72:73]
	s_wait_alu 0xfffd
	v_div_fmas_f64 v[66:67], v[66:67], v[68:69], v[70:71]
	s_delay_alu instid0(VALU_DEP_1) | instskip(NEXT) | instid1(VALU_DEP_1)
	v_div_fixup_f64 v[64:65], v[66:67], v[49:50], v[64:65]
	v_fma_f64 v[64:65], v[64:65], v[64:65], 1.0
	s_delay_alu instid0(VALU_DEP_1) | instskip(SKIP_2) | instid1(VALU_DEP_1)
	v_cmp_gt_f64_e32 vcc_lo, 0x10000000, v[64:65]
	s_wait_alu 0xfffd
	v_cndmask_b32_e64 v57, 0, 0x100, vcc_lo
	v_ldexp_f64 v[64:65], v[64:65], v57
	v_cndmask_b32_e64 v57, 0, 0xffffff80, vcc_lo
	s_delay_alu instid0(VALU_DEP_2) | instskip(SKIP_1) | instid1(TRANS32_DEP_1)
	v_rsq_f64_e32 v[66:67], v[64:65]
	v_cmp_class_f64_e64 vcc_lo, v[64:65], 0x260
	v_mul_f64_e32 v[68:69], v[64:65], v[66:67]
	v_mul_f64_e32 v[66:67], 0.5, v[66:67]
	s_delay_alu instid0(VALU_DEP_1) | instskip(NEXT) | instid1(VALU_DEP_1)
	v_fma_f64 v[70:71], -v[66:67], v[68:69], 0.5
	v_fma_f64 v[68:69], v[68:69], v[70:71], v[68:69]
	v_fma_f64 v[66:67], v[66:67], v[70:71], v[66:67]
	s_delay_alu instid0(VALU_DEP_2) | instskip(NEXT) | instid1(VALU_DEP_1)
	v_fma_f64 v[70:71], -v[68:69], v[68:69], v[64:65]
	v_fma_f64 v[68:69], v[70:71], v[66:67], v[68:69]
	s_delay_alu instid0(VALU_DEP_1) | instskip(NEXT) | instid1(VALU_DEP_1)
	v_fma_f64 v[70:71], -v[68:69], v[68:69], v[64:65]
	v_fma_f64 v[66:67], v[70:71], v[66:67], v[68:69]
	s_delay_alu instid0(VALU_DEP_1) | instskip(SKIP_1) | instid1(VALU_DEP_1)
	v_ldexp_f64 v[66:67], v[66:67], v57
	s_wait_alu 0xfffd
	v_dual_cndmask_b32 v65, v67, v65 :: v_dual_cndmask_b32 v64, v66, v64
	s_delay_alu instid0(VALU_DEP_1)
	v_mul_f64_e32 v[66:67], v[49:50], v[64:65]
.LBB11_10:                              ;   in Loop: Header=BB11_4 Depth=1
	s_or_b32 exec_lo, exec_lo, s23
	s_delay_alu instid0(VALU_DEP_1)
	v_cmp_gt_f64_e32 vcc_lo, 0x10000000, v[66:67]
	v_mul_f64_e32 v[74:75], 0x80000000, v[39:40]
	v_mul_f64_e32 v[76:77], 0x80000000, v[3:4]
	s_mov_b32 s23, exec_lo
	s_wait_alu 0xfffd
	v_cndmask_b32_e64 v49, 0, 0x100, vcc_lo
	v_cndmask_b32_e64 v57, 0, 0xffffff80, vcc_lo
	s_delay_alu instid0(VALU_DEP_2) | instskip(NEXT) | instid1(VALU_DEP_1)
	v_ldexp_f64 v[49:50], v[66:67], v49
	v_rsq_f64_e32 v[64:65], v[49:50]
	v_cmp_class_f64_e64 vcc_lo, v[49:50], 0x260
	s_delay_alu instid0(TRANS32_DEP_1) | instskip(SKIP_1) | instid1(VALU_DEP_1)
	v_mul_f64_e32 v[66:67], v[49:50], v[64:65]
	v_mul_f64_e32 v[64:65], 0.5, v[64:65]
	v_fma_f64 v[68:69], -v[64:65], v[66:67], 0.5
	s_delay_alu instid0(VALU_DEP_1) | instskip(SKIP_1) | instid1(VALU_DEP_2)
	v_fma_f64 v[66:67], v[66:67], v[68:69], v[66:67]
	v_fma_f64 v[64:65], v[64:65], v[68:69], v[64:65]
	v_fma_f64 v[68:69], -v[66:67], v[66:67], v[49:50]
	s_delay_alu instid0(VALU_DEP_1) | instskip(NEXT) | instid1(VALU_DEP_1)
	v_fma_f64 v[66:67], v[68:69], v[64:65], v[66:67]
	v_fma_f64 v[68:69], -v[66:67], v[66:67], v[49:50]
	s_delay_alu instid0(VALU_DEP_1) | instskip(NEXT) | instid1(VALU_DEP_1)
	v_fma_f64 v[64:65], v[68:69], v[64:65], v[66:67]
	v_ldexp_f64 v[64:65], v[64:65], v57
	v_ashrrev_i32_e32 v57, 31, v56
	s_wait_alu 0xfffd
	s_delay_alu instid0(VALU_DEP_2) | instskip(NEXT) | instid1(VALU_DEP_1)
	v_dual_cndmask_b32 v50, v65, v50 :: v_dual_cndmask_b32 v49, v64, v49
	v_fma_f64 v[64:65], v[49:50], v[49:50], 0
	s_delay_alu instid0(VALU_DEP_1) | instskip(SKIP_1) | instid1(VALU_DEP_2)
	v_div_scale_f64 v[66:67], null, v[64:65], v[64:65], 1.0
	v_div_scale_f64 v[72:73], vcc_lo, 1.0, v[64:65], 1.0
	v_rcp_f64_e32 v[68:69], v[66:67]
	s_delay_alu instid0(TRANS32_DEP_1) | instskip(NEXT) | instid1(VALU_DEP_1)
	v_fma_f64 v[70:71], -v[66:67], v[68:69], 1.0
	v_fma_f64 v[68:69], v[68:69], v[70:71], v[68:69]
	s_delay_alu instid0(VALU_DEP_1) | instskip(NEXT) | instid1(VALU_DEP_1)
	v_fma_f64 v[70:71], -v[66:67], v[68:69], 1.0
	v_fma_f64 v[68:69], v[68:69], v[70:71], v[68:69]
	s_delay_alu instid0(VALU_DEP_1) | instskip(NEXT) | instid1(VALU_DEP_1)
	v_mul_f64_e32 v[70:71], v[72:73], v[68:69]
	v_fma_f64 v[66:67], -v[66:67], v[70:71], v[72:73]
	v_mul_f64_e32 v[72:73], 0x80000000, v[1:2]
	s_wait_alu 0xfffd
	s_delay_alu instid0(VALU_DEP_2) | instskip(SKIP_1) | instid1(VALU_DEP_3)
	v_div_fmas_f64 v[66:67], v[66:67], v[68:69], v[70:71]
	v_mul_f64_e32 v[68:69], 0x80000000, v[37:38]
	v_fma_f64 v[78:79], -v[3:4], v[49:50], v[72:73]
	v_add_co_u32 v90, vcc_lo, s2, v15
	s_wait_alu 0xfffd
	v_add_co_ci_u32_e64 v91, null, s3, v16, vcc_lo
	v_fma_f64 v[15:16], v[37:38], v[49:50], v[74:75]
	global_load_b128 v[70:73], v[90:91], off
	v_div_fixup_f64 v[64:65], v[66:67], v[64:65], 1.0
	v_fma_f64 v[66:67], -v[39:40], v[49:50], v[68:69]
	v_fma_f64 v[49:50], v[1:2], v[49:50], v[76:77]
	s_delay_alu instid0(VALU_DEP_3) | instskip(NEXT) | instid1(VALU_DEP_3)
	v_mul_f64_e32 v[88:89], v[78:79], v[64:65]
	v_mul_f64_e32 v[86:87], v[66:67], v[64:65]
	;; [unrolled: 1-line block ×3, first 2 shown]
	s_delay_alu instid0(VALU_DEP_4) | instskip(SKIP_1) | instid1(VALU_DEP_4)
	v_mul_f64_e32 v[94:95], v[49:50], v[64:65]
	s_wait_loadcnt 0x7
	v_mul_f64_e64 v[15:16], v[88:89], -v[27:28]
	v_mul_f64_e32 v[49:50], v[25:26], v[88:89]
	s_wait_loadcnt 0x5
	v_mul_f64_e32 v[64:65], v[35:36], v[86:87]
	v_mul_f64_e64 v[66:67], v[33:34], -v[86:87]
	v_mul_f64_e32 v[74:75], v[1:2], v[88:89]
	v_mul_f64_e64 v[68:69], v[88:89], -v[3:4]
	s_wait_loadcnt 0x1
	v_mul_f64_e64 v[76:77], v[9:10], -v[86:87]
	v_mul_f64_e64 v[78:79], v[88:89], -v[11:12]
	v_mul_f64_e32 v[80:81], v[9:10], v[88:89]
	v_mul_f64_e64 v[98:99], v[25:26], -v[86:87]
	v_fma_f64 v[15:16], v[25:26], v[94:95], v[15:16]
	v_fma_f64 v[49:50], v[27:28], v[94:95], v[49:50]
	;; [unrolled: 1-line block ×6, first 2 shown]
	v_mul_f64_e32 v[68:69], v[11:12], v[86:87]
	v_fma_f64 v[76:77], v[11:12], v[92:93], v[76:77]
	v_fma_f64 v[11:12], v[11:12], v[94:95], v[80:81]
	;; [unrolled: 1-line block ×4, first 2 shown]
	v_fma_f64 v[64:65], -v[21:22], v[94:95], v[64:65]
	v_fma_f64 v[66:67], -v[23:24], v[94:95], v[66:67]
	v_fma_f64 v[84:85], v[39:40], v[92:93], v[3:4]
	v_fma_f64 v[82:83], v[37:38], v[92:93], v[1:2]
	;; [unrolled: 1-line block ×3, first 2 shown]
	v_mul_f64_e64 v[68:69], v[88:89], -v[35:36]
	v_fma_f64 v[9:10], v[9:10], v[94:95], v[78:79]
	v_fma_f64 v[1:2], -v[7:8], v[86:87], v[15:16]
	v_fma_f64 v[3:4], v[5:6], v[86:87], v[49:50]
	v_fma_f64 v[64:65], v[23:24], -v[88:89], v[64:65]
	v_fma_f64 v[66:67], v[21:22], v[88:89], v[66:67]
	v_fma_f64 v[15:16], v[37:38], v[86:87], v[84:85]
	v_mul_f64_e32 v[37:38], v[33:34], v[88:89]
	v_add_co_u32 v49, vcc_lo, s2, v13
	s_wait_alu 0xfffd
	v_add_co_ci_u32_e64 v50, null, s3, v14, vcc_lo
	v_fma_f64 v[13:14], -v[39:40], v[86:87], v[82:83]
	v_mul_f64_e64 v[39:40], v[88:89], -v[31:32]
	v_mul_f64_e32 v[82:83], v[29:30], v[88:89]
	global_load_b128 v[78:81], v[49:50], off
	v_mul_f64_e32 v[84:85], v[27:28], v[86:87]
	v_fma_f64 v[68:69], v[33:34], v[94:95], v[68:69]
	v_fma_f64 v[27:28], v[27:28], v[92:93], v[98:99]
	s_clause 0x1
	global_store_b128 v[43:44], v[1:4], off
	global_store_b128 v[62:63], v[64:67], off
	v_mul_f64_e32 v[62:63], v[31:32], v[86:87]
	v_mul_f64_e64 v[66:67], v[29:30], -v[86:87]
	v_lshlrev_b64_e32 v[64:65], 4, v[56:57]
	v_fma_f64 v[96:97], v[35:36], v[94:95], v[37:38]
	s_delay_alu instid0(VALU_DEP_2) | instskip(SKIP_1) | instid1(VALU_DEP_3)
	v_add_co_u32 v37, vcc_lo, s6, v64
	s_wait_alu 0xfffd
	v_add_co_ci_u32_e64 v38, null, s7, v65, vcc_lo
	v_fma_f64 v[39:40], v[29:30], v[94:95], v[39:40]
	v_fma_f64 v[56:57], v[31:32], v[94:95], v[82:83]
	;; [unrolled: 1-line block ×3, first 2 shown]
	global_load_b128 v[33:36], v[37:38], off
	v_fma_f64 v[29:30], v[29:30], v[92:93], v[62:63]
	v_fma_f64 v[31:32], v[31:32], v[92:93], v[66:67]
	;; [unrolled: 1-line block ×4, first 2 shown]
	v_fma_f64 v[96:97], -v[7:8], v[94:95], v[27:28]
	v_fma_f64 v[39:40], v[17:18], v[92:93], v[39:40]
	v_fma_f64 v[56:57], v[19:20], v[92:93], v[56:57]
	v_fma_f64 v[84:85], -v[5:6], v[94:95], v[25:26]
	s_wait_loadcnt 0x2
	v_mul_f64_e64 v[98:99], v[88:89], -v[72:73]
	v_mul_f64_e32 v[100:101], v[88:89], v[70:71]
	v_mul_f64_e32 v[102:103], v[86:87], v[72:73]
	v_fma_f64 v[68:69], -v[17:18], v[94:95], v[29:30]
	v_fma_f64 v[82:83], -v[19:20], v[94:95], v[31:32]
	;; [unrolled: 1-line block ×3, first 2 shown]
	v_fma_f64 v[31:32], v[21:22], v[86:87], v[66:67]
	v_add_co_u32 v66, vcc_lo, s8, v64
	s_wait_alu 0xfffd
	v_add_co_ci_u32_e64 v67, null, s9, v65, vcc_lo
	v_fma_f64 v[21:22], -v[19:20], v[86:87], v[39:40]
	v_fma_f64 v[23:24], v[17:18], v[86:87], v[56:57]
	v_add_nc_u32_e32 v39, s17, v55
	v_ashrrev_i32_e32 v56, 31, v55
	s_delay_alu instid0(VALU_DEP_2) | instskip(NEXT) | instid1(VALU_DEP_2)
	v_ashrrev_i32_e32 v40, 31, v39
	v_lshlrev_b64_e32 v[55:56], 4, v[55:56]
	v_fma_f64 v[25:26], v[19:20], -v[88:89], v[68:69]
	v_fma_f64 v[27:28], v[17:18], v[88:89], v[82:83]
	v_mul_f64_e64 v[17:18], v[70:71], -v[86:87]
	v_fma_f64 v[82:83], v[7:8], -v[88:89], v[84:85]
	v_fma_f64 v[84:85], v[5:6], v[88:89], v[96:97]
	v_lshlrev_b64_e32 v[5:6], 4, v[39:40]
	v_fma_f64 v[96:97], v[70:71], v[94:95], v[98:99]
	v_fma_f64 v[98:99], v[72:73], v[94:95], v[100:101]
	;; [unrolled: 1-line block ×3, first 2 shown]
	s_delay_alu instid0(VALU_DEP_4)
	v_add_co_u32 v62, vcc_lo, s12, v5
	s_wait_alu 0xfffd
	v_add_co_ci_u32_e64 v63, null, s13, v6, vcc_lo
	v_add_co_u32 v68, vcc_lo, s12, v55
	s_wait_alu 0xfffd
	v_add_co_ci_u32_e64 v69, null, s13, v56, vcc_lo
	;; [unrolled: 3-line block ×3, first 2 shown]
	global_store_b128 v[62:63], v[9:12], off
	s_clause 0x1
	global_store_b128 v[45:46], v[29:32], off
	global_store_b128 v[58:59], v[25:28], off
	global_load_b128 v[5:8], v[68:69], off
	s_clause 0x1
	global_store_b128 v[47:48], v[21:24], off
	global_store_b128 v[60:61], v[74:77], off
	v_fma_f64 v[102:103], v[72:73], v[92:93], v[17:18]
	global_load_b128 v[25:28], v[66:67], off
	global_load_b128 v[17:20], v[70:71], off
	v_mul_f64_e64 v[57:58], v[13:14], -v[15:16]
	v_mul_f64_e32 v[72:73], v[15:16], v[15:16]
	s_delay_alu instid0(VALU_DEP_2) | instskip(NEXT) | instid1(VALU_DEP_2)
	v_fma_f64 v[57:58], v[15:16], v[13:14], v[57:58]
	v_fma_f64 v[72:73], v[13:14], v[13:14], v[72:73]
	s_wait_loadcnt 0x4
	v_fma_f64 v[59:60], v[78:79], v[92:93], v[96:97]
	v_fma_f64 v[76:77], v[80:81], v[92:93], v[98:99]
	v_fma_f64 v[92:93], -v[78:79], v[94:95], v[100:101]
	v_fma_f64 v[94:95], -v[80:81], v[94:95], v[102:103]
	s_delay_alu instid0(VALU_DEP_3) | instskip(SKIP_3) | instid1(VALU_DEP_2)
	v_fma_f64 v[76:77], v[78:79], v[86:87], v[76:77]
	s_wait_loadcnt 0x3
	v_fma_f64 v[57:58], v[35:36], v[33:34], v[57:58]
	v_fma_f64 v[74:75], v[33:34], v[33:34], v[72:73]
	v_fma_f64 v[72:73], v[33:34], -v[35:36], v[57:58]
	s_delay_alu instid0(VALU_DEP_2)
	v_fma_f64 v[57:58], v[35:36], v[35:36], v[74:75]
	v_fma_f64 v[74:75], -v[80:81], v[86:87], v[59:60]
	v_fma_f64 v[86:87], v[80:81], -v[88:89], v[92:93]
	v_fma_f64 v[88:89], v[78:79], v[88:89], v[94:95]
	s_clause 0x1
	global_store_b128 v[51:52], v[13:16], off
	global_store_b128 v[53:54], v[82:85], off
	s_clause 0x1
	global_store_b128 v[49:50], v[74:77], off
	global_store_b128 v[90:91], v[86:89], off
	v_cmp_gt_f64_e32 vcc_lo, 0, v[72:73]
	v_xor_b32_e32 v40, 0x80000000, v73
	v_mov_b32_e32 v59, v72
                                        ; implicit-def: $vgpr51_vgpr52
	s_wait_alu 0xfffd
	s_delay_alu instid0(VALU_DEP_2) | instskip(NEXT) | instid1(VALU_DEP_1)
	v_cndmask_b32_e32 v60, v73, v40, vcc_lo
	v_cmpx_ngt_f64_e32 v[57:58], v[59:60]
	s_xor_b32 s23, exec_lo, s23
	s_cbranch_execz .LBB11_14
; %bb.11:                               ;   in Loop: Header=BB11_4 Depth=1
	v_mov_b32_e32 v51, 0
	v_mov_b32_e32 v52, 0
	s_mov_b32 s24, exec_lo
	v_cmpx_neq_f64_e32 0, v[72:73]
	s_cbranch_execz .LBB11_13
; %bb.12:                               ;   in Loop: Header=BB11_4 Depth=1
	v_div_scale_f64 v[51:52], null, v[59:60], v[59:60], v[57:58]
	v_div_scale_f64 v[74:75], vcc_lo, v[57:58], v[59:60], v[57:58]
	s_delay_alu instid0(VALU_DEP_2) | instskip(NEXT) | instid1(TRANS32_DEP_1)
	v_rcp_f64_e32 v[53:54], v[51:52]
	v_fma_f64 v[72:73], -v[51:52], v[53:54], 1.0
	s_delay_alu instid0(VALU_DEP_1) | instskip(NEXT) | instid1(VALU_DEP_1)
	v_fma_f64 v[53:54], v[53:54], v[72:73], v[53:54]
	v_fma_f64 v[72:73], -v[51:52], v[53:54], 1.0
	s_delay_alu instid0(VALU_DEP_1) | instskip(NEXT) | instid1(VALU_DEP_1)
	v_fma_f64 v[53:54], v[53:54], v[72:73], v[53:54]
	v_mul_f64_e32 v[72:73], v[74:75], v[53:54]
	s_delay_alu instid0(VALU_DEP_1) | instskip(SKIP_1) | instid1(VALU_DEP_1)
	v_fma_f64 v[51:52], -v[51:52], v[72:73], v[74:75]
	s_wait_alu 0xfffd
	v_div_fmas_f64 v[51:52], v[51:52], v[53:54], v[72:73]
	s_delay_alu instid0(VALU_DEP_1) | instskip(NEXT) | instid1(VALU_DEP_1)
	v_div_fixup_f64 v[51:52], v[51:52], v[59:60], v[57:58]
	v_fma_f64 v[51:52], v[51:52], v[51:52], 1.0
	s_delay_alu instid0(VALU_DEP_1) | instskip(SKIP_2) | instid1(VALU_DEP_1)
	v_cmp_gt_f64_e32 vcc_lo, 0x10000000, v[51:52]
	s_wait_alu 0xfffd
	v_cndmask_b32_e64 v40, 0, 0x100, vcc_lo
	v_ldexp_f64 v[51:52], v[51:52], v40
	v_cndmask_b32_e64 v40, 0, 0xffffff80, vcc_lo
	s_delay_alu instid0(VALU_DEP_2) | instskip(SKIP_1) | instid1(TRANS32_DEP_1)
	v_rsq_f64_e32 v[53:54], v[51:52]
	v_cmp_class_f64_e64 vcc_lo, v[51:52], 0x260
	v_mul_f64_e32 v[57:58], v[51:52], v[53:54]
	v_mul_f64_e32 v[53:54], 0.5, v[53:54]
	s_delay_alu instid0(VALU_DEP_1) | instskip(NEXT) | instid1(VALU_DEP_1)
	v_fma_f64 v[72:73], -v[53:54], v[57:58], 0.5
	v_fma_f64 v[57:58], v[57:58], v[72:73], v[57:58]
	v_fma_f64 v[53:54], v[53:54], v[72:73], v[53:54]
	s_delay_alu instid0(VALU_DEP_2) | instskip(NEXT) | instid1(VALU_DEP_1)
	v_fma_f64 v[72:73], -v[57:58], v[57:58], v[51:52]
	v_fma_f64 v[57:58], v[72:73], v[53:54], v[57:58]
	s_delay_alu instid0(VALU_DEP_1) | instskip(NEXT) | instid1(VALU_DEP_1)
	v_fma_f64 v[72:73], -v[57:58], v[57:58], v[51:52]
	v_fma_f64 v[53:54], v[72:73], v[53:54], v[57:58]
	s_delay_alu instid0(VALU_DEP_1) | instskip(SKIP_1) | instid1(VALU_DEP_1)
	v_ldexp_f64 v[53:54], v[53:54], v40
	s_wait_alu 0xfffd
	v_dual_cndmask_b32 v52, v54, v52 :: v_dual_cndmask_b32 v51, v53, v51
	s_delay_alu instid0(VALU_DEP_1)
	v_mul_f64_e32 v[51:52], v[59:60], v[51:52]
.LBB11_13:                              ;   in Loop: Header=BB11_4 Depth=1
	s_or_b32 exec_lo, exec_lo, s24
                                        ; implicit-def: $vgpr57_vgpr58
                                        ; implicit-def: $vgpr59_vgpr60
.LBB11_14:                              ;   in Loop: Header=BB11_4 Depth=1
	s_and_not1_saveexec_b32 s23, s23
	s_cbranch_execz .LBB11_3
; %bb.15:                               ;   in Loop: Header=BB11_4 Depth=1
	v_div_scale_f64 v[51:52], null, v[57:58], v[57:58], v[59:60]
	v_div_scale_f64 v[74:75], vcc_lo, v[59:60], v[57:58], v[59:60]
	s_delay_alu instid0(VALU_DEP_2) | instskip(NEXT) | instid1(TRANS32_DEP_1)
	v_rcp_f64_e32 v[53:54], v[51:52]
	v_fma_f64 v[72:73], -v[51:52], v[53:54], 1.0
	s_delay_alu instid0(VALU_DEP_1) | instskip(NEXT) | instid1(VALU_DEP_1)
	v_fma_f64 v[53:54], v[53:54], v[72:73], v[53:54]
	v_fma_f64 v[72:73], -v[51:52], v[53:54], 1.0
	s_delay_alu instid0(VALU_DEP_1) | instskip(NEXT) | instid1(VALU_DEP_1)
	v_fma_f64 v[53:54], v[53:54], v[72:73], v[53:54]
	v_mul_f64_e32 v[72:73], v[74:75], v[53:54]
	s_delay_alu instid0(VALU_DEP_1) | instskip(SKIP_1) | instid1(VALU_DEP_1)
	v_fma_f64 v[51:52], -v[51:52], v[72:73], v[74:75]
	s_wait_alu 0xfffd
	v_div_fmas_f64 v[51:52], v[51:52], v[53:54], v[72:73]
	s_delay_alu instid0(VALU_DEP_1) | instskip(NEXT) | instid1(VALU_DEP_1)
	v_div_fixup_f64 v[51:52], v[51:52], v[57:58], v[59:60]
	v_fma_f64 v[51:52], v[51:52], v[51:52], 1.0
	s_delay_alu instid0(VALU_DEP_1) | instskip(SKIP_2) | instid1(VALU_DEP_1)
	v_cmp_gt_f64_e32 vcc_lo, 0x10000000, v[51:52]
	s_wait_alu 0xfffd
	v_cndmask_b32_e64 v40, 0, 0x100, vcc_lo
	v_ldexp_f64 v[51:52], v[51:52], v40
	v_cndmask_b32_e64 v40, 0, 0xffffff80, vcc_lo
	s_delay_alu instid0(VALU_DEP_2) | instskip(SKIP_1) | instid1(TRANS32_DEP_1)
	v_rsq_f64_e32 v[53:54], v[51:52]
	v_cmp_class_f64_e64 vcc_lo, v[51:52], 0x260
	v_mul_f64_e32 v[59:60], v[51:52], v[53:54]
	v_mul_f64_e32 v[53:54], 0.5, v[53:54]
	s_delay_alu instid0(VALU_DEP_1) | instskip(NEXT) | instid1(VALU_DEP_1)
	v_fma_f64 v[72:73], -v[53:54], v[59:60], 0.5
	v_fma_f64 v[59:60], v[59:60], v[72:73], v[59:60]
	v_fma_f64 v[53:54], v[53:54], v[72:73], v[53:54]
	s_delay_alu instid0(VALU_DEP_2) | instskip(NEXT) | instid1(VALU_DEP_1)
	v_fma_f64 v[72:73], -v[59:60], v[59:60], v[51:52]
	v_fma_f64 v[59:60], v[72:73], v[53:54], v[59:60]
	s_delay_alu instid0(VALU_DEP_1) | instskip(NEXT) | instid1(VALU_DEP_1)
	v_fma_f64 v[72:73], -v[59:60], v[59:60], v[51:52]
	v_fma_f64 v[53:54], v[72:73], v[53:54], v[59:60]
	s_delay_alu instid0(VALU_DEP_1) | instskip(SKIP_1) | instid1(VALU_DEP_1)
	v_ldexp_f64 v[53:54], v[53:54], v40
	s_wait_alu 0xfffd
	v_dual_cndmask_b32 v52, v54, v52 :: v_dual_cndmask_b32 v51, v53, v51
	s_delay_alu instid0(VALU_DEP_1)
	v_mul_f64_e32 v[51:52], v[57:58], v[51:52]
	s_branch .LBB11_3
.LBB11_16:
	s_add_co_i32 s0, s16, -1
                                        ; implicit-def: $vgpr53_vgpr54
	s_wait_alu 0xfffe
	s_mul_i32 s0, s18, s0
	s_wait_alu 0xfffe
	v_add_nc_u32_e32 v1, s0, v41
	s_sub_co_i32 s1, s0, s18
	s_delay_alu instid0(VALU_DEP_1) | instskip(NEXT) | instid1(VALU_DEP_1)
	v_ashrrev_i32_e32 v2, 31, v1
	v_lshlrev_b64_e32 v[61:62], 4, v[1:2]
	s_wait_kmcnt 0x0
	s_delay_alu instid0(VALU_DEP_1) | instskip(SKIP_1) | instid1(VALU_DEP_2)
	v_add_co_u32 v1, vcc_lo, s4, v61
	s_wait_alu 0xfffd
	v_add_co_ci_u32_e64 v2, null, s5, v62, vcc_lo
	s_mov_b32 s4, exec_lo
	global_load_b128 v[25:28], v[1:2], off
	s_wait_alu 0xfffe
	v_add_nc_u32_e32 v1, s1, v41
	s_delay_alu instid0(VALU_DEP_1) | instskip(NEXT) | instid1(VALU_DEP_1)
	v_ashrrev_i32_e32 v2, 31, v1
	v_lshlrev_b64_e32 v[63:64], 4, v[1:2]
	v_mad_co_u64_u32 v[1:2], null, s17, s20, v[41:42]
	s_delay_alu instid0(VALU_DEP_2) | instskip(SKIP_1) | instid1(VALU_DEP_3)
	v_add_co_u32 v55, vcc_lo, s6, v63
	s_wait_alu 0xfffd
	v_add_co_ci_u32_e64 v56, null, s7, v64, vcc_lo
	s_delay_alu instid0(VALU_DEP_3) | instskip(SKIP_2) | instid1(VALU_DEP_1)
	v_ashrrev_i32_e32 v2, 31, v1
	global_load_b128 v[29:32], v[55:56], off
	v_lshlrev_b64_e32 v[37:38], 4, v[1:2]
	v_add_co_u32 v39, vcc_lo, s12, v37
	s_wait_alu 0xfffd
	s_delay_alu instid0(VALU_DEP_2)
	v_add_co_ci_u32_e64 v40, null, s13, v38, vcc_lo
	v_add_co_u32 v65, vcc_lo, s6, v61
	s_wait_alu 0xfffd
	v_add_co_ci_u32_e64 v66, null, s7, v62, vcc_lo
	v_add_co_u32 v59, vcc_lo, s8, v61
	s_wait_alu 0xfffd
	;; [unrolled: 3-line block ×5, first 2 shown]
	v_add_co_ci_u32_e64 v48, null, s11, v64, vcc_lo
	s_wait_loadcnt 0x1
	v_mul_f64_e64 v[49:50], v[25:26], -v[27:28]
	v_mul_f64_e32 v[51:52], v[27:28], v[27:28]
	s_delay_alu instid0(VALU_DEP_2) | instskip(NEXT) | instid1(VALU_DEP_2)
	v_fma_f64 v[49:50], v[27:28], v[25:26], v[49:50]
	v_fma_f64 v[51:52], v[25:26], v[25:26], v[51:52]
	s_wait_loadcnt 0x0
	s_delay_alu instid0(VALU_DEP_2) | instskip(NEXT) | instid1(VALU_DEP_2)
	v_fma_f64 v[49:50], v[31:32], v[29:30], v[49:50]
	v_fma_f64 v[51:52], v[29:30], v[29:30], v[51:52]
	s_delay_alu instid0(VALU_DEP_2) | instskip(SKIP_1) | instid1(VALU_DEP_3)
	v_fma_f64 v[67:68], v[29:30], -v[31:32], v[49:50]
	v_add_nc_u32_e32 v42, s17, v1
	v_fma_f64 v[49:50], v[31:32], v[31:32], v[51:52]
	s_delay_alu instid0(VALU_DEP_2) | instskip(NEXT) | instid1(VALU_DEP_1)
	v_ashrrev_i32_e32 v43, 31, v42
	v_lshlrev_b64_e32 v[1:2], 4, v[42:43]
	s_delay_alu instid0(VALU_DEP_1) | instskip(SKIP_1) | instid1(VALU_DEP_2)
	v_add_co_u32 v43, vcc_lo, s12, v1
	s_wait_alu 0xfffd
	v_add_co_ci_u32_e64 v44, null, s13, v2, vcc_lo
	global_load_b128 v[33:36], v[65:66], off
	s_clause 0x1
	global_load_b128 v[21:24], v[57:58], off
	global_load_b128 v[17:20], v[59:60], off
	s_clause 0x1
	global_load_b128 v[13:16], v[47:48], off
	;; [unrolled: 3-line block ×3, first 2 shown]
	global_load_b128 v[1:4], v[43:44], off
	v_cmp_gt_f64_e32 vcc_lo, 0, v[67:68]
	v_xor_b32_e32 v51, 0x80000000, v68
	s_wait_alu 0xfffd
	s_delay_alu instid0(VALU_DEP_1) | instskip(NEXT) | instid1(VALU_DEP_1)
	v_dual_cndmask_b32 v52, v68, v51 :: v_dual_mov_b32 v51, v67
	v_cmpx_ngt_f64_e32 v[49:50], v[51:52]
	s_xor_b32 s4, exec_lo, s4
	s_cbranch_execz .LBB11_20
; %bb.17:
	v_mov_b32_e32 v53, 0
	v_mov_b32_e32 v54, 0
	s_mov_b32 s5, exec_lo
	v_cmpx_neq_f64_e32 0, v[67:68]
	s_cbranch_execz .LBB11_19
; %bb.18:
	v_div_scale_f64 v[53:54], null, v[51:52], v[51:52], v[49:50]
	v_div_scale_f64 v[71:72], vcc_lo, v[49:50], v[51:52], v[49:50]
	s_delay_alu instid0(VALU_DEP_2) | instskip(NEXT) | instid1(TRANS32_DEP_1)
	v_rcp_f64_e32 v[67:68], v[53:54]
	v_fma_f64 v[69:70], -v[53:54], v[67:68], 1.0
	s_delay_alu instid0(VALU_DEP_1) | instskip(NEXT) | instid1(VALU_DEP_1)
	v_fma_f64 v[67:68], v[67:68], v[69:70], v[67:68]
	v_fma_f64 v[69:70], -v[53:54], v[67:68], 1.0
	s_delay_alu instid0(VALU_DEP_1) | instskip(NEXT) | instid1(VALU_DEP_1)
	v_fma_f64 v[67:68], v[67:68], v[69:70], v[67:68]
	v_mul_f64_e32 v[69:70], v[71:72], v[67:68]
	s_delay_alu instid0(VALU_DEP_1) | instskip(SKIP_1) | instid1(VALU_DEP_1)
	v_fma_f64 v[53:54], -v[53:54], v[69:70], v[71:72]
	s_wait_alu 0xfffd
	v_div_fmas_f64 v[53:54], v[53:54], v[67:68], v[69:70]
	s_delay_alu instid0(VALU_DEP_1) | instskip(NEXT) | instid1(VALU_DEP_1)
	v_div_fixup_f64 v[49:50], v[53:54], v[51:52], v[49:50]
	v_fma_f64 v[49:50], v[49:50], v[49:50], 1.0
	s_delay_alu instid0(VALU_DEP_1) | instskip(SKIP_2) | instid1(VALU_DEP_1)
	v_cmp_gt_f64_e32 vcc_lo, 0x10000000, v[49:50]
	s_wait_alu 0xfffd
	v_cndmask_b32_e64 v53, 0, 0x100, vcc_lo
	v_ldexp_f64 v[49:50], v[49:50], v53
	s_delay_alu instid0(VALU_DEP_1) | instskip(NEXT) | instid1(TRANS32_DEP_1)
	v_rsq_f64_e32 v[53:54], v[49:50]
	v_mul_f64_e32 v[67:68], v[49:50], v[53:54]
	v_mul_f64_e32 v[53:54], 0.5, v[53:54]
	s_delay_alu instid0(VALU_DEP_1) | instskip(NEXT) | instid1(VALU_DEP_1)
	v_fma_f64 v[69:70], -v[53:54], v[67:68], 0.5
	v_fma_f64 v[67:68], v[67:68], v[69:70], v[67:68]
	v_fma_f64 v[53:54], v[53:54], v[69:70], v[53:54]
	s_delay_alu instid0(VALU_DEP_2) | instskip(NEXT) | instid1(VALU_DEP_1)
	v_fma_f64 v[69:70], -v[67:68], v[67:68], v[49:50]
	v_fma_f64 v[67:68], v[69:70], v[53:54], v[67:68]
	s_delay_alu instid0(VALU_DEP_1) | instskip(NEXT) | instid1(VALU_DEP_1)
	v_fma_f64 v[69:70], -v[67:68], v[67:68], v[49:50]
	v_fma_f64 v[53:54], v[69:70], v[53:54], v[67:68]
	v_cndmask_b32_e64 v67, 0, 0xffffff80, vcc_lo
	v_cmp_class_f64_e64 vcc_lo, v[49:50], 0x260
	s_delay_alu instid0(VALU_DEP_2) | instskip(SKIP_1) | instid1(VALU_DEP_1)
	v_ldexp_f64 v[53:54], v[53:54], v67
	s_wait_alu 0xfffd
	v_dual_cndmask_b32 v50, v54, v50 :: v_dual_cndmask_b32 v49, v53, v49
	s_delay_alu instid0(VALU_DEP_1)
	v_mul_f64_e32 v[53:54], v[51:52], v[49:50]
.LBB11_19:
	s_wait_alu 0xfffe
	s_or_b32 exec_lo, exec_lo, s5
                                        ; implicit-def: $vgpr49_vgpr50
                                        ; implicit-def: $vgpr51_vgpr52
.LBB11_20:
	s_wait_alu 0xfffe
	s_and_not1_saveexec_b32 s4, s4
	s_cbranch_execz .LBB11_22
; %bb.21:
	v_div_scale_f64 v[53:54], null, v[49:50], v[49:50], v[51:52]
	v_div_scale_f64 v[71:72], vcc_lo, v[51:52], v[49:50], v[51:52]
	s_delay_alu instid0(VALU_DEP_2) | instskip(NEXT) | instid1(TRANS32_DEP_1)
	v_rcp_f64_e32 v[67:68], v[53:54]
	v_fma_f64 v[69:70], -v[53:54], v[67:68], 1.0
	s_delay_alu instid0(VALU_DEP_1) | instskip(NEXT) | instid1(VALU_DEP_1)
	v_fma_f64 v[67:68], v[67:68], v[69:70], v[67:68]
	v_fma_f64 v[69:70], -v[53:54], v[67:68], 1.0
	s_delay_alu instid0(VALU_DEP_1) | instskip(NEXT) | instid1(VALU_DEP_1)
	v_fma_f64 v[67:68], v[67:68], v[69:70], v[67:68]
	v_mul_f64_e32 v[69:70], v[71:72], v[67:68]
	s_delay_alu instid0(VALU_DEP_1) | instskip(SKIP_1) | instid1(VALU_DEP_1)
	v_fma_f64 v[53:54], -v[53:54], v[69:70], v[71:72]
	s_wait_alu 0xfffd
	v_div_fmas_f64 v[53:54], v[53:54], v[67:68], v[69:70]
	s_delay_alu instid0(VALU_DEP_1) | instskip(NEXT) | instid1(VALU_DEP_1)
	v_div_fixup_f64 v[51:52], v[53:54], v[49:50], v[51:52]
	v_fma_f64 v[51:52], v[51:52], v[51:52], 1.0
	s_delay_alu instid0(VALU_DEP_1) | instskip(SKIP_2) | instid1(VALU_DEP_1)
	v_cmp_gt_f64_e32 vcc_lo, 0x10000000, v[51:52]
	s_wait_alu 0xfffd
	v_cndmask_b32_e64 v53, 0, 0x100, vcc_lo
	v_ldexp_f64 v[51:52], v[51:52], v53
	s_delay_alu instid0(VALU_DEP_1) | instskip(NEXT) | instid1(TRANS32_DEP_1)
	v_rsq_f64_e32 v[53:54], v[51:52]
	v_mul_f64_e32 v[67:68], v[51:52], v[53:54]
	v_mul_f64_e32 v[53:54], 0.5, v[53:54]
	s_delay_alu instid0(VALU_DEP_1) | instskip(NEXT) | instid1(VALU_DEP_1)
	v_fma_f64 v[69:70], -v[53:54], v[67:68], 0.5
	v_fma_f64 v[67:68], v[67:68], v[69:70], v[67:68]
	v_fma_f64 v[53:54], v[53:54], v[69:70], v[53:54]
	s_delay_alu instid0(VALU_DEP_2) | instskip(NEXT) | instid1(VALU_DEP_1)
	v_fma_f64 v[69:70], -v[67:68], v[67:68], v[51:52]
	v_fma_f64 v[67:68], v[69:70], v[53:54], v[67:68]
	s_delay_alu instid0(VALU_DEP_1) | instskip(NEXT) | instid1(VALU_DEP_1)
	v_fma_f64 v[69:70], -v[67:68], v[67:68], v[51:52]
	v_fma_f64 v[53:54], v[69:70], v[53:54], v[67:68]
	v_cndmask_b32_e64 v67, 0, 0xffffff80, vcc_lo
	v_cmp_class_f64_e64 vcc_lo, v[51:52], 0x260
	s_delay_alu instid0(VALU_DEP_2) | instskip(SKIP_1) | instid1(VALU_DEP_1)
	v_ldexp_f64 v[53:54], v[53:54], v67
	s_wait_alu 0xfffd
	v_dual_cndmask_b32 v52, v54, v52 :: v_dual_cndmask_b32 v51, v53, v51
	s_delay_alu instid0(VALU_DEP_1)
	v_mul_f64_e32 v[53:54], v[49:50], v[51:52]
.LBB11_22:
	s_wait_alu 0xfffe
	s_or_b32 exec_lo, exec_lo, s4
	s_delay_alu instid0(VALU_DEP_1) | instskip(SKIP_3) | instid1(VALU_DEP_1)
	v_cmp_gt_f64_e32 vcc_lo, 0x10000000, v[53:54]
	s_sub_co_i32 s1, s1, s18
	s_wait_alu 0xfffd
	v_cndmask_b32_e64 v49, 0, 0x100, vcc_lo
	v_ldexp_f64 v[49:50], v[53:54], v49
	s_delay_alu instid0(VALU_DEP_1) | instskip(NEXT) | instid1(TRANS32_DEP_1)
	v_rsq_f64_e32 v[51:52], v[49:50]
	v_mul_f64_e32 v[53:54], v[49:50], v[51:52]
	v_mul_f64_e32 v[51:52], 0.5, v[51:52]
	s_delay_alu instid0(VALU_DEP_1) | instskip(NEXT) | instid1(VALU_DEP_1)
	v_fma_f64 v[67:68], -v[51:52], v[53:54], 0.5
	v_fma_f64 v[53:54], v[53:54], v[67:68], v[53:54]
	v_fma_f64 v[51:52], v[51:52], v[67:68], v[51:52]
	s_delay_alu instid0(VALU_DEP_2) | instskip(NEXT) | instid1(VALU_DEP_1)
	v_fma_f64 v[67:68], -v[53:54], v[53:54], v[49:50]
	v_fma_f64 v[53:54], v[67:68], v[51:52], v[53:54]
	s_delay_alu instid0(VALU_DEP_1) | instskip(NEXT) | instid1(VALU_DEP_1)
	v_fma_f64 v[67:68], -v[53:54], v[53:54], v[49:50]
	v_fma_f64 v[51:52], v[67:68], v[51:52], v[53:54]
	v_cndmask_b32_e64 v53, 0, 0xffffff80, vcc_lo
	v_cmp_class_f64_e64 vcc_lo, v[49:50], 0x260
	s_delay_alu instid0(VALU_DEP_2) | instskip(SKIP_1) | instid1(VALU_DEP_1)
	v_ldexp_f64 v[51:52], v[51:52], v53
	s_wait_alu 0xfffd
	v_dual_cndmask_b32 v50, v52, v50 :: v_dual_cndmask_b32 v49, v51, v49
	s_delay_alu instid0(VALU_DEP_1) | instskip(NEXT) | instid1(VALU_DEP_1)
	v_fma_f64 v[51:52], v[49:50], v[49:50], 0
	v_div_scale_f64 v[53:54], null, v[51:52], v[51:52], 1.0
	v_div_scale_f64 v[71:72], vcc_lo, 1.0, v[51:52], 1.0
	s_delay_alu instid0(VALU_DEP_2) | instskip(NEXT) | instid1(TRANS32_DEP_1)
	v_rcp_f64_e32 v[67:68], v[53:54]
	v_fma_f64 v[69:70], -v[53:54], v[67:68], 1.0
	s_delay_alu instid0(VALU_DEP_1) | instskip(NEXT) | instid1(VALU_DEP_1)
	v_fma_f64 v[67:68], v[67:68], v[69:70], v[67:68]
	v_fma_f64 v[69:70], -v[53:54], v[67:68], 1.0
	s_delay_alu instid0(VALU_DEP_1) | instskip(NEXT) | instid1(VALU_DEP_1)
	v_fma_f64 v[67:68], v[67:68], v[69:70], v[67:68]
	v_mul_f64_e32 v[69:70], v[71:72], v[67:68]
	s_delay_alu instid0(VALU_DEP_1) | instskip(SKIP_2) | instid1(VALU_DEP_2)
	v_fma_f64 v[53:54], -v[53:54], v[69:70], v[71:72]
	v_mul_f64_e32 v[71:72], 0x80000000, v[29:30]
	s_wait_alu 0xfffd
	v_div_fmas_f64 v[53:54], v[53:54], v[67:68], v[69:70]
	v_mul_f64_e32 v[67:68], 0x80000000, v[31:32]
	s_delay_alu instid0(VALU_DEP_3)
	v_fma_f64 v[69:70], -v[31:32], v[49:50], v[71:72]
	v_add_co_u32 v79, vcc_lo, s2, v61
	s_wait_alu 0xfffd
	v_add_co_ci_u32_e64 v80, null, s3, v62, vcc_lo
	v_add_co_u32 v81, vcc_lo, s2, v63
	s_wait_alu 0xfffd
	v_add_co_ci_u32_e64 v82, null, s3, v64, vcc_lo
	v_div_fixup_f64 v[71:72], v[53:54], v[51:52], 1.0
	v_mul_f64_e32 v[53:54], 0x80000000, v[27:28]
	v_fma_f64 v[67:68], v[29:30], v[49:50], v[67:68]
	s_delay_alu instid0(VALU_DEP_3) | instskip(SKIP_1) | instid1(VALU_DEP_4)
	v_mul_f64_e32 v[51:52], v[69:70], v[71:72]
	v_mul_f64_e32 v[69:70], 0x80000000, v[25:26]
	v_fma_f64 v[73:74], v[25:26], v[49:50], v[53:54]
	s_delay_alu instid0(VALU_DEP_4) | instskip(SKIP_1) | instid1(VALU_DEP_4)
	v_mul_f64_e32 v[53:54], v[67:68], v[71:72]
	s_wait_loadcnt 0x6
	v_mul_f64_e64 v[67:68], v[33:34], -v[51:52]
	s_delay_alu instid0(VALU_DEP_4) | instskip(NEXT) | instid1(VALU_DEP_4)
	v_fma_f64 v[75:76], -v[27:28], v[49:50], v[69:70]
	v_mul_f64_e32 v[49:50], v[73:74], v[71:72]
	v_mul_f64_e32 v[73:74], v[35:36], v[51:52]
	s_delay_alu instid0(VALU_DEP_4)
	v_fma_f64 v[77:78], v[35:36], v[53:54], v[67:68]
	global_load_b128 v[67:70], v[79:80], off
	v_mul_f64_e32 v[75:76], v[75:76], v[71:72]
	v_fma_f64 v[61:62], v[33:34], v[53:54], v[73:74]
	s_wait_loadcnt 0x6
	v_fma_f64 v[71:72], -v[23:24], v[49:50], v[77:78]
	s_delay_alu instid0(VALU_DEP_3) | instskip(NEXT) | instid1(VALU_DEP_3)
	v_mul_f64_e64 v[83:84], v[75:76], -v[27:28]
	v_fma_f64 v[77:78], -v[21:22], v[49:50], v[61:62]
	global_load_b128 v[61:64], v[81:82], off
	v_mul_f64_e32 v[85:86], v[25:26], v[75:76]
	v_fma_f64 v[73:74], v[21:22], v[75:76], v[71:72]
	v_fma_f64 v[25:26], v[25:26], v[49:50], v[83:84]
	v_fma_f64 v[71:72], v[23:24], -v[75:76], v[77:78]
	s_delay_alu instid0(VALU_DEP_4) | instskip(NEXT) | instid1(VALU_DEP_4)
	v_fma_f64 v[27:28], v[27:28], v[49:50], v[85:86]
	v_mul_f64_e32 v[77:78], v[73:74], v[73:74]
	s_delay_alu instid0(VALU_DEP_4) | instskip(NEXT) | instid1(VALU_DEP_3)
	v_fma_f64 v[25:26], v[29:30], v[53:54], v[25:26]
	v_fma_f64 v[27:28], v[31:32], v[53:54], v[27:28]
	s_delay_alu instid0(VALU_DEP_3) | instskip(NEXT) | instid1(VALU_DEP_3)
	v_fma_f64 v[77:78], v[71:72], v[71:72], v[77:78]
	v_fma_f64 v[25:26], -v[31:32], v[51:52], v[25:26]
	s_delay_alu instid0(VALU_DEP_3)
	v_fma_f64 v[27:28], v[29:30], v[51:52], v[27:28]
	s_clause 0x1
	global_store_b128 v[55:56], v[25:28], off
	global_store_b128 v[65:66], v[71:74], off
	v_div_scale_f64 v[83:84], null, v[77:78], v[77:78], 1.0
	global_load_b128 v[25:28], v[55:56], off
	v_mul_f64_e64 v[55:56], v[75:76], -v[35:36]
	v_mul_f64_e32 v[65:66], v[33:34], v[75:76]
	v_rcp_f64_e32 v[29:30], v[83:84]
	s_delay_alu instid0(VALU_DEP_2) | instskip(NEXT) | instid1(VALU_DEP_2)
	v_fma_f64 v[33:34], v[33:34], v[49:50], v[55:56]
	v_fma_f64 v[35:36], v[35:36], v[49:50], v[65:66]
	s_wait_loadcnt 0x7
	v_mul_f64_e32 v[65:66], v[19:20], v[51:52]
	s_delay_alu instid0(TRANS32_DEP_1) | instskip(NEXT) | instid1(VALU_DEP_4)
	v_fma_f64 v[31:32], -v[83:84], v[29:30], 1.0
	v_fma_f64 v[33:34], v[21:22], v[53:54], v[33:34]
	s_delay_alu instid0(VALU_DEP_4) | instskip(NEXT) | instid1(VALU_DEP_3)
	v_fma_f64 v[35:36], v[23:24], v[53:54], v[35:36]
	v_fma_f64 v[29:30], v[29:30], v[31:32], v[29:30]
	s_wait_loadcnt 0x2
	v_mul_f64_e64 v[31:32], v[75:76], -v[69:70]
	v_mul_f64_e32 v[85:86], v[75:76], v[67:68]
	v_mul_f64_e32 v[87:88], v[51:52], v[69:70]
	v_mul_f64_e64 v[89:90], v[67:68], -v[51:52]
	v_fma_f64 v[55:56], -v[83:84], v[29:30], 1.0
	v_fma_f64 v[91:92], v[67:68], v[49:50], v[31:32]
	v_fma_f64 v[85:86], v[69:70], v[49:50], v[85:86]
	;; [unrolled: 1-line block ×4, first 2 shown]
	v_mul_f64_e64 v[69:70], v[17:18], -v[51:52]
	v_div_scale_f64 v[87:88], vcc_lo, 1.0, v[77:78], 1.0
	v_fma_f64 v[55:56], v[29:30], v[55:56], v[29:30]
	v_fma_f64 v[29:30], v[17:18], v[53:54], v[65:66]
	s_wait_loadcnt 0x1
	v_fma_f64 v[31:32], -v[61:62], v[49:50], v[31:32]
	v_fma_f64 v[67:68], -v[63:64], v[49:50], v[67:68]
	v_fma_f64 v[65:66], v[19:20], v[53:54], v[69:70]
	v_mul_f64_e32 v[69:70], v[87:88], v[55:56]
	v_fma_f64 v[89:90], -v[13:14], v[49:50], v[29:30]
	v_fma_f64 v[29:30], -v[23:24], v[51:52], v[33:34]
	v_fma_f64 v[67:68], v[61:62], v[75:76], v[67:68]
	v_fma_f64 v[65:66], -v[15:16], v[49:50], v[65:66]
	v_fma_f64 v[83:84], -v[83:84], v[69:70], v[87:88]
	v_fma_f64 v[87:88], v[63:64], -v[75:76], v[31:32]
	v_fma_f64 v[31:32], v[21:22], v[51:52], v[35:36]
	v_fma_f64 v[21:22], v[15:16], -v[75:76], v[89:90]
	v_mul_f64_e32 v[33:34], v[73:74], v[67:68]
	v_fma_f64 v[23:24], v[13:14], v[75:76], v[65:66]
	v_fma_f64 v[65:66], v[61:62], v[53:54], v[91:92]
	s_clause 0x1
	global_store_b128 v[57:58], v[29:32], off
	global_store_b128 v[59:60], v[21:24], off
	s_wait_alu 0xfffd
	v_div_fmas_f64 v[35:36], v[83:84], v[55:56], v[69:70]
	v_mul_f64_e64 v[55:56], v[73:74], -v[87:88]
	v_fma_f64 v[69:70], v[63:64], v[53:54], v[85:86]
	v_fma_f64 v[33:34], v[87:88], v[71:72], v[33:34]
	global_load_b128 v[21:24], v[57:58], off
	v_fma_f64 v[29:30], -v[63:64], v[51:52], v[65:66]
	v_mul_f64_e64 v[73:74], v[9:10], -v[51:52]
	v_div_fixup_f64 v[35:36], v[35:36], v[77:78], 1.0
	v_fma_f64 v[55:56], v[67:68], v[71:72], v[55:56]
	v_fma_f64 v[31:32], v[61:62], v[51:52], v[69:70]
	s_delay_alu instid0(VALU_DEP_3) | instskip(NEXT) | instid1(VALU_DEP_3)
	v_mul_f64_e32 v[33:34], v[35:36], v[33:34]
	v_mul_f64_e32 v[35:36], v[35:36], v[55:56]
	s_wait_loadcnt 0x1
	v_mul_f64_e32 v[55:56], v[27:28], v[27:28]
	s_clause 0x1
	global_store_b128 v[81:82], v[29:32], off
	global_store_b128 v[79:80], v[33:36], off
	global_load_b128 v[29:32], v[81:82], off
	v_fma_f64 v[59:60], v[25:26], v[25:26], v[55:56]
	s_delay_alu instid0(VALU_DEP_1) | instskip(NEXT) | instid1(VALU_DEP_1)
	v_div_scale_f64 v[61:62], null, v[59:60], v[59:60], 1.0
	v_rcp_f64_e32 v[55:56], v[61:62]
	s_delay_alu instid0(TRANS32_DEP_1) | instskip(NEXT) | instid1(VALU_DEP_1)
	v_fma_f64 v[57:58], -v[61:62], v[55:56], 1.0
	v_fma_f64 v[63:64], v[55:56], v[57:58], v[55:56]
	s_wait_alu 0xfffe
	v_add_nc_u32_e32 v55, s1, v41
	s_sub_co_i32 s1, s1, s18
	s_cmp_lt_i32 s16, 5
	s_delay_alu instid0(VALU_DEP_1) | instskip(NEXT) | instid1(VALU_DEP_1)
	v_ashrrev_i32_e32 v56, 31, v55
	v_lshlrev_b64_e32 v[65:66], 4, v[55:56]
	s_delay_alu instid0(VALU_DEP_1) | instskip(SKIP_1) | instid1(VALU_DEP_2)
	v_add_co_u32 v55, vcc_lo, s6, v65
	s_wait_alu 0xfffd
	v_add_co_ci_u32_e64 v56, null, s7, v66, vcc_lo
	v_div_scale_f64 v[69:70], vcc_lo, 1.0, v[59:60], 1.0
	global_load_b128 v[55:58], v[55:56], off
	v_fma_f64 v[67:68], -v[61:62], v[63:64], 1.0
	s_delay_alu instid0(VALU_DEP_1) | instskip(SKIP_3) | instid1(VALU_DEP_3)
	v_fma_f64 v[63:64], v[63:64], v[67:68], v[63:64]
	s_wait_loadcnt 0x2
	v_mul_f64_e32 v[67:68], v[35:36], v[21:22]
	v_mul_f64_e64 v[35:36], v[35:36], -v[23:24]
	v_mul_f64_e32 v[71:72], v[69:70], v[63:64]
	s_delay_alu instid0(VALU_DEP_3) | instskip(NEXT) | instid1(VALU_DEP_3)
	v_fma_f64 v[23:24], v[23:24], v[33:34], v[67:68]
	v_fma_f64 v[21:22], v[21:22], v[33:34], v[35:36]
	v_mul_f64_e64 v[33:34], v[75:76], -v[19:20]
	v_mul_f64_e32 v[35:36], v[17:18], v[75:76]
	v_mul_f64_e32 v[67:68], v[11:12], v[51:52]
	v_fma_f64 v[61:62], -v[61:62], v[71:72], v[69:70]
	s_delay_alu instid0(VALU_DEP_4) | instskip(NEXT) | instid1(VALU_DEP_4)
	v_fma_f64 v[17:18], v[17:18], v[49:50], v[33:34]
	v_fma_f64 v[19:20], v[19:20], v[49:50], v[35:36]
	s_wait_loadcnt 0x1
	v_add_f64_e64 v[23:24], v[31:32], -v[23:24]
	v_add_f64_e64 v[21:22], v[29:30], -v[21:22]
	v_fma_f64 v[29:30], v[9:10], v[53:54], v[67:68]
	v_fma_f64 v[31:32], v[11:12], v[53:54], v[73:74]
	s_wait_alu 0xfffd
	v_div_fmas_f64 v[33:34], v[61:62], v[63:64], v[71:72]
	v_fma_f64 v[17:18], v[13:14], v[53:54], v[17:18]
	v_fma_f64 v[19:20], v[15:16], v[53:54], v[19:20]
	v_mul_f64_e32 v[35:36], v[23:24], v[27:28]
	v_mul_f64_e64 v[27:28], v[27:28], -v[21:22]
	v_fma_f64 v[29:30], -v[5:6], v[49:50], v[29:30]
	v_fma_f64 v[31:32], -v[7:8], v[49:50], v[31:32]
	v_div_fixup_f64 v[33:34], v[33:34], v[59:60], 1.0
	v_fma_f64 v[15:16], -v[15:16], v[51:52], v[17:18]
	v_fma_f64 v[17:18], v[13:14], v[51:52], v[19:20]
	v_fma_f64 v[35:36], v[21:22], v[25:26], v[35:36]
	;; [unrolled: 1-line block ×3, first 2 shown]
	v_add_co_u32 v23, vcc_lo, s8, v65
	s_wait_alu 0xfffd
	v_add_co_ci_u32_e64 v24, null, s9, v66, vcc_lo
	v_fma_f64 v[19:20], v[7:8], -v[75:76], v[29:30]
	v_fma_f64 v[21:22], v[5:6], v[75:76], v[31:32]
	v_add_co_u32 v13, vcc_lo, s10, v65
	global_load_b128 v[23:26], v[23:24], off
	s_wait_alu 0xfffd
	v_add_co_ci_u32_e64 v14, null, s11, v66, vcc_lo
	s_clause 0x1
	global_store_b128 v[47:48], v[15:18], off
	global_store_b128 v[45:46], v[19:22], off
	v_mul_f64_e32 v[27:28], v[35:36], v[33:34]
	v_mul_f64_e32 v[29:30], v[59:60], v[33:34]
	global_load_b128 v[13:16], v[13:14], off
	v_add_co_u32 v35, vcc_lo, s2, v65
	s_wait_alu 0xfffd
	v_add_co_ci_u32_e64 v36, null, s3, v66, vcc_lo
	global_store_b128 v[81:82], v[27:30], off
	s_clause 0x1
	global_load_b128 v[17:20], v[79:80], off
	global_load_b128 v[31:34], v[35:36], off
	s_wait_loadcnt 0x4
	v_mul_f64_e32 v[21:22], v[57:58], v[57:58]
	s_delay_alu instid0(VALU_DEP_1) | instskip(NEXT) | instid1(VALU_DEP_1)
	v_fma_f64 v[21:22], v[55:56], v[55:56], v[21:22]
	v_div_scale_f64 v[59:60], null, v[21:22], v[21:22], 1.0
	s_delay_alu instid0(VALU_DEP_1) | instskip(NEXT) | instid1(TRANS32_DEP_1)
	v_rcp_f64_e32 v[45:46], v[59:60]
	v_fma_f64 v[47:48], -v[59:60], v[45:46], 1.0
	s_delay_alu instid0(VALU_DEP_1) | instskip(SKIP_2) | instid1(VALU_DEP_1)
	v_fma_f64 v[61:62], v[45:46], v[47:48], v[45:46]
	s_wait_alu 0xfffe
	v_add_nc_u32_e32 v45, s1, v41
	v_ashrrev_i32_e32 v46, 31, v45
	s_delay_alu instid0(VALU_DEP_1) | instskip(NEXT) | instid1(VALU_DEP_1)
	v_lshlrev_b64_e32 v[67:68], 4, v[45:46]
	v_add_co_u32 v45, vcc_lo, s6, v67
	s_wait_alu 0xfffd
	s_delay_alu instid0(VALU_DEP_2)
	v_add_co_ci_u32_e64 v46, null, s7, v68, vcc_lo
	v_div_scale_f64 v[69:70], vcc_lo, 1.0, v[21:22], 1.0
	global_load_b128 v[45:48], v[45:46], off
	s_wait_loadcnt 0x4
	v_mul_f64_e64 v[65:66], v[29:30], -v[25:26]
	v_mul_f64_e32 v[29:30], v[23:24], v[29:30]
	v_fma_f64 v[63:64], -v[59:60], v[61:62], 1.0
	s_delay_alu instid0(VALU_DEP_3) | instskip(NEXT) | instid1(VALU_DEP_3)
	v_fma_f64 v[23:24], v[23:24], v[27:28], v[65:66]
	v_fma_f64 v[25:26], v[25:26], v[27:28], v[29:30]
	s_delay_alu instid0(VALU_DEP_3)
	v_fma_f64 v[61:62], v[61:62], v[63:64], v[61:62]
	s_wait_loadcnt 0x2
	v_mul_f64_e32 v[27:28], v[19:20], v[13:14]
	v_mul_f64_e64 v[19:20], v[19:20], -v[15:16]
	s_wait_loadcnt 0x1
	v_add_f64_e64 v[23:24], v[31:32], -v[23:24]
	v_add_f64_e64 v[25:26], v[33:34], -v[25:26]
	v_mul_f64_e32 v[29:30], v[69:70], v[61:62]
	v_fma_f64 v[15:16], v[15:16], v[17:18], v[27:28]
	v_fma_f64 v[13:14], v[13:14], v[17:18], v[19:20]
	v_mul_f64_e64 v[19:20], v[75:76], -v[11:12]
	s_delay_alu instid0(VALU_DEP_4) | instskip(NEXT) | instid1(VALU_DEP_4)
	v_fma_f64 v[17:18], -v[59:60], v[29:30], v[69:70]
	v_add_f64_e64 v[15:16], v[25:26], -v[15:16]
	s_delay_alu instid0(VALU_DEP_4)
	v_add_f64_e64 v[13:14], v[23:24], -v[13:14]
	v_mul_f64_e32 v[23:24], v[9:10], v[75:76]
	v_fma_f64 v[9:10], v[9:10], v[49:50], v[19:20]
	s_wait_alu 0xfffd
	v_div_fmas_f64 v[17:18], v[17:18], v[61:62], v[29:30]
	v_add_co_u32 v19, vcc_lo, s8, v67
	s_wait_alu 0xfffd
	v_add_co_ci_u32_e64 v20, null, s9, v68, vcc_lo
	v_add_co_u32 v29, vcc_lo, s10, v67
	s_wait_alu 0xfffd
	v_add_co_ci_u32_e64 v30, null, s11, v68, vcc_lo
	;; [unrolled: 3-line block ×3, first 2 shown]
	v_mul_f64_e32 v[25:26], v[57:58], v[15:16]
	v_mul_f64_e64 v[27:28], v[57:58], -v[13:14]
	v_fma_f64 v[11:12], v[11:12], v[49:50], v[23:24]
	v_fma_f64 v[23:24], v[5:6], v[53:54], v[9:10]
	v_div_fixup_f64 v[17:18], v[17:18], v[21:22], 1.0
	v_mul_f64_e32 v[21:22], v[3:4], v[51:52]
	v_fma_f64 v[13:14], v[13:14], v[55:56], v[25:26]
	v_fma_f64 v[15:16], v[15:16], v[55:56], v[27:28]
	;; [unrolled: 1-line block ×3, first 2 shown]
	v_mul_f64_e64 v[27:28], v[1:2], -v[51:52]
	global_load_b128 v[9:12], v[19:20], off
	v_mul_f64_e32 v[13:14], v[13:14], v[17:18]
	v_mul_f64_e32 v[15:16], v[17:18], v[15:16]
	v_fma_f64 v[17:18], v[1:2], v[53:54], v[21:22]
	v_fma_f64 v[21:22], -v[7:8], v[51:52], v[23:24]
	v_fma_f64 v[23:24], v[5:6], v[51:52], v[25:26]
	v_fma_f64 v[19:20], v[3:4], v[53:54], v[27:28]
	global_load_b128 v[5:8], v[29:30], off
	v_mad_co_u64_u32 v[29:30], null, s17, -3, v[42:43]
	s_delay_alu instid0(VALU_DEP_1) | instskip(NEXT) | instid1(VALU_DEP_1)
	v_ashrrev_i32_e32 v30, 31, v29
	v_lshlrev_b64_e32 v[29:30], 4, v[29:30]
	s_delay_alu instid0(VALU_DEP_1) | instskip(SKIP_1) | instid1(VALU_DEP_2)
	v_add_co_u32 v29, vcc_lo, s12, v29
	s_wait_alu 0xfffd
	v_add_co_ci_u32_e64 v30, null, s13, v30, vcc_lo
	global_store_b128 v[35:36], v[13:16], off
	global_load_b128 v[25:28], v[81:82], off
	s_clause 0x1
	global_store_b128 v[39:40], v[21:24], off
	global_store_b128 v[43:44], v[17:20], off
	global_load_b128 v[17:20], v[33:34], off
	global_load_b128 v[21:24], v[29:30], off
	;; [unrolled: 1-line block ×3, first 2 shown]
	s_wait_loadcnt 0x6
	v_mul_f64_e32 v[35:36], v[47:48], v[47:48]
	s_delay_alu instid0(VALU_DEP_1) | instskip(NEXT) | instid1(VALU_DEP_1)
	v_fma_f64 v[35:36], v[45:46], v[45:46], v[35:36]
	v_div_scale_f64 v[39:40], null, v[35:36], v[35:36], 1.0
	s_delay_alu instid0(VALU_DEP_1) | instskip(NEXT) | instid1(TRANS32_DEP_1)
	v_rcp_f64_e32 v[41:42], v[39:40]
	v_fma_f64 v[43:44], -v[39:40], v[41:42], 1.0
	s_delay_alu instid0(VALU_DEP_1) | instskip(NEXT) | instid1(VALU_DEP_1)
	v_fma_f64 v[41:42], v[41:42], v[43:44], v[41:42]
	v_fma_f64 v[51:52], -v[39:40], v[41:42], 1.0
	s_wait_loadcnt 0x5
	v_mul_f64_e64 v[43:44], v[15:16], -v[11:12]
	v_mul_f64_e32 v[15:16], v[9:10], v[15:16]
	s_delay_alu instid0(VALU_DEP_3) | instskip(NEXT) | instid1(VALU_DEP_3)
	v_fma_f64 v[41:42], v[41:42], v[51:52], v[41:42]
	v_fma_f64 v[9:10], v[9:10], v[13:14], v[43:44]
	s_delay_alu instid0(VALU_DEP_3)
	v_fma_f64 v[11:12], v[11:12], v[13:14], v[15:16]
	s_wait_loadcnt 0x3
	v_mul_f64_e32 v[13:14], v[27:28], v[5:6]
	v_mul_f64_e64 v[15:16], v[27:28], -v[7:8]
	v_div_scale_f64 v[27:28], vcc_lo, 1.0, v[35:36], 1.0
	s_wait_loadcnt 0x2
	v_add_f64_e64 v[9:10], v[17:18], -v[9:10]
	v_add_f64_e64 v[11:12], v[19:20], -v[11:12]
	s_wait_loadcnt 0x0
	v_mul_f64_e64 v[17:18], v[31:32], -v[23:24]
	v_mul_f64_e32 v[19:20], v[31:32], v[21:22]
	v_fma_f64 v[7:8], v[7:8], v[25:26], v[13:14]
	v_fma_f64 v[5:6], v[5:6], v[25:26], v[15:16]
	v_mul_f64_e32 v[13:14], v[27:28], v[41:42]
	v_fma_f64 v[15:16], v[21:22], v[29:30], v[17:18]
	v_fma_f64 v[17:18], v[23:24], v[29:30], v[19:20]
	v_add_f64_e64 v[7:8], v[11:12], -v[7:8]
	v_add_f64_e64 v[5:6], v[9:10], -v[5:6]
	v_fma_f64 v[9:10], -v[39:40], v[13:14], v[27:28]
	s_delay_alu instid0(VALU_DEP_3) | instskip(NEXT) | instid1(VALU_DEP_3)
	v_add_f64_e64 v[7:8], v[7:8], -v[17:18]
	v_add_f64_e64 v[5:6], v[5:6], -v[15:16]
	s_wait_alu 0xfffd
	s_delay_alu instid0(VALU_DEP_3)
	v_div_fmas_f64 v[9:10], v[9:10], v[41:42], v[13:14]
	v_mul_f64_e64 v[15:16], v[75:76], -v[3:4]
	v_mul_f64_e32 v[17:18], v[1:2], v[75:76]
	v_mul_f64_e32 v[11:12], v[47:48], v[7:8]
	v_mul_f64_e64 v[13:14], v[47:48], -v[5:6]
	v_div_fixup_f64 v[9:10], v[9:10], v[35:36], 1.0
	v_fma_f64 v[1:2], v[1:2], v[49:50], v[15:16]
	v_fma_f64 v[3:4], v[3:4], v[49:50], v[17:18]
	;; [unrolled: 1-line block ×4, first 2 shown]
	s_delay_alu instid0(VALU_DEP_2) | instskip(NEXT) | instid1(VALU_DEP_2)
	v_mul_f64_e32 v[5:6], v[5:6], v[9:10]
	v_mul_f64_e32 v[7:8], v[9:10], v[7:8]
	v_add_co_u32 v9, vcc_lo, s14, v37
	s_wait_alu 0xfffd
	v_add_co_ci_u32_e64 v10, null, s15, v38, vcc_lo
	global_store_b128 v[9:10], v[1:4], off
	global_store_b128 v[33:34], v[5:8], off
	s_cbranch_scc1 .LBB11_25
; %bb.23:
	s_add_co_i32 s4, s16, -5
	s_add_co_i32 s1, s16, -4
	s_wait_alu 0xfffe
	v_mad_co_u64_u32 v[1:2], null, s17, s4, v[0:1]
	s_add_co_i32 s5, s16, -3
	v_mad_co_u64_u32 v[2:3], null, s18, s1, v[0:1]
	s_wait_alu 0xfffe
	v_mad_co_u64_u32 v[3:4], null, s18, s5, v[0:1]
	v_mad_co_u64_u32 v[4:5], null, s18, s20, v[0:1]
	;; [unrolled: 1-line block ×3, first 2 shown]
	v_add_nc_u32_e32 v0, s0, v0
.LBB11_24:                              ; =>This Inner Loop Header: Depth=1
	s_delay_alu instid0(VALU_DEP_2)
	v_add_nc_u32_e32 v6, s19, v5
	v_add_nc_u32_e32 v10, s19, v2
	;; [unrolled: 1-line block ×5, first 2 shown]
	v_ashrrev_i32_e32 v7, 31, v6
	v_ashrrev_i32_e32 v11, 31, v10
	;; [unrolled: 1-line block ×5, first 2 shown]
	v_lshlrev_b64_e32 v[26:27], 4, v[6:7]
	v_lshlrev_b64_e32 v[10:11], 4, v[10:11]
	;; [unrolled: 1-line block ×5, first 2 shown]
	v_add_nc_u32_e32 v40, s19, v0
	v_add_co_u32 v6, vcc_lo, s6, v26
	s_wait_alu 0xfffd
	v_add_co_ci_u32_e64 v7, null, s7, v27, vcc_lo
	v_add_co_u32 v10, vcc_lo, s2, v10
	s_wait_alu 0xfffd
	v_add_co_ci_u32_e64 v11, null, s3, v11, vcc_lo
	global_load_b128 v[6:9], v[6:7], off
	v_add_co_u32 v14, vcc_lo, s8, v26
	s_wait_alu 0xfffd
	v_add_co_ci_u32_e64 v15, null, s9, v27, vcc_lo
	global_load_b128 v[10:13], v[10:11], off
	global_load_b128 v[14:17], v[14:15], off
	v_add_co_u32 v18, vcc_lo, s2, v18
	s_wait_alu 0xfffd
	v_add_co_ci_u32_e64 v19, null, s3, v19, vcc_lo
	v_add_co_u32 v22, vcc_lo, s10, v26
	s_wait_alu 0xfffd
	v_add_co_ci_u32_e64 v23, null, s11, v27, vcc_lo
	global_load_b128 v[18:21], v[18:19], off
	global_load_b128 v[22:25], v[22:23], off
	v_add_co_u32 v30, vcc_lo, s12, v38
	s_wait_alu 0xfffd
	v_add_co_ci_u32_e64 v31, null, s13, v39, vcc_lo
	v_add_co_u32 v28, vcc_lo, s2, v28
	s_wait_alu 0xfffd
	v_add_co_ci_u32_e64 v29, null, s3, v29, vcc_lo
	;; [unrolled: 3-line block ×3, first 2 shown]
	global_load_b128 v[26:29], v[28:29], off
	global_load_b128 v[30:33], v[30:31], off
	;; [unrolled: 1-line block ×3, first 2 shown]
	v_ashrrev_i32_e32 v41, 31, v40
	v_subrev_nc_u32_e32 v1, s17, v1
	v_subrev_nc_u32_e32 v2, s18, v2
	;; [unrolled: 1-line block ×4, first 2 shown]
	v_lshlrev_b64_e32 v[40:41], 4, v[40:41]
	v_subrev_nc_u32_e32 v0, s18, v0
	v_subrev_nc_u32_e32 v5, s18, v5
	s_add_co_i32 s1, s1, -1
	s_wait_alu 0xfffe
	s_cmp_lg_u32 s1, 0
	v_add_co_u32 v40, vcc_lo, s2, v40
	s_wait_alu 0xfffd
	v_add_co_ci_u32_e64 v41, null, s3, v41, vcc_lo
	v_add_co_u32 v42, vcc_lo, s14, v38
	s_wait_alu 0xfffd
	v_add_co_ci_u32_e64 v43, null, s15, v39, vcc_lo
	global_load_b128 v[38:41], v[40:41], off
	global_load_b128 v[42:45], v[42:43], off
	s_wait_loadcnt 0x9
	v_mul_f64_e32 v[48:49], v[8:9], v[8:9]
	s_wait_loadcnt 0x7
	v_mul_f64_e32 v[54:55], v[12:13], v[14:15]
	v_mul_f64_e64 v[12:13], v[12:13], -v[16:17]
	s_wait_loadcnt 0x5
	v_mul_f64_e64 v[58:59], v[20:21], -v[24:25]
	v_mul_f64_e32 v[20:21], v[20:21], v[22:23]
	v_fma_f64 v[48:49], v[6:7], v[6:7], v[48:49]
	v_fma_f64 v[16:17], v[16:17], v[10:11], v[54:55]
	;; [unrolled: 1-line block ×3, first 2 shown]
	s_wait_loadcnt 0x3
	v_mul_f64_e64 v[14:15], v[28:29], -v[32:33]
	v_mul_f64_e32 v[28:29], v[28:29], v[30:31]
	v_fma_f64 v[22:23], v[22:23], v[18:19], v[58:59]
	v_fma_f64 v[18:19], v[24:25], v[18:19], v[20:21]
	s_wait_loadcnt 0x0
	v_mul_f64_e64 v[24:25], v[40:41], -v[44:45]
	v_div_scale_f64 v[50:51], null, v[48:49], v[48:49], 1.0
	v_add_f64_e64 v[16:17], v[36:37], -v[16:17]
	v_add_f64_e64 v[10:11], v[34:35], -v[10:11]
	v_mul_f64_e32 v[34:35], v[40:41], v[42:43]
	v_fma_f64 v[14:15], v[30:31], v[26:27], v[14:15]
	v_fma_f64 v[26:27], v[32:33], v[26:27], v[28:29]
	v_div_scale_f64 v[28:29], vcc_lo, 1.0, v[48:49], 1.0
	v_rcp_f64_e32 v[52:53], v[50:51]
	v_add_f64_e64 v[16:17], v[16:17], -v[18:19]
	v_add_f64_e64 v[10:11], v[10:11], -v[22:23]
	v_fma_f64 v[18:19], v[42:43], v[38:39], v[24:25]
	s_delay_alu instid0(TRANS32_DEP_1) | instskip(NEXT) | instid1(VALU_DEP_4)
	v_fma_f64 v[56:57], -v[50:51], v[52:53], 1.0
	v_add_f64_e64 v[16:17], v[16:17], -v[26:27]
	s_delay_alu instid0(VALU_DEP_4) | instskip(NEXT) | instid1(VALU_DEP_3)
	v_add_f64_e64 v[10:11], v[10:11], -v[14:15]
	v_fma_f64 v[12:13], v[52:53], v[56:57], v[52:53]
	s_delay_alu instid0(VALU_DEP_2) | instskip(NEXT) | instid1(VALU_DEP_2)
	v_add_f64_e64 v[10:11], v[10:11], -v[18:19]
	v_fma_f64 v[20:21], -v[50:51], v[12:13], 1.0
	s_delay_alu instid0(VALU_DEP_1) | instskip(SKIP_1) | instid1(VALU_DEP_2)
	v_fma_f64 v[12:13], v[12:13], v[20:21], v[12:13]
	v_fma_f64 v[20:21], v[44:45], v[38:39], v[34:35]
	v_mul_f64_e32 v[14:15], v[28:29], v[12:13]
	s_delay_alu instid0(VALU_DEP_2) | instskip(NEXT) | instid1(VALU_DEP_2)
	v_add_f64_e64 v[16:17], v[16:17], -v[20:21]
	v_fma_f64 v[18:19], -v[50:51], v[14:15], v[28:29]
	s_delay_alu instid0(VALU_DEP_2) | instskip(SKIP_2) | instid1(VALU_DEP_3)
	v_mul_f64_e32 v[20:21], v[8:9], v[16:17]
	v_mul_f64_e64 v[8:9], v[8:9], -v[10:11]
	s_wait_alu 0xfffd
	v_div_fmas_f64 v[12:13], v[18:19], v[12:13], v[14:15]
	s_delay_alu instid0(VALU_DEP_3) | instskip(NEXT) | instid1(VALU_DEP_3)
	v_fma_f64 v[10:11], v[10:11], v[6:7], v[20:21]
	v_fma_f64 v[8:9], v[16:17], v[6:7], v[8:9]
	s_delay_alu instid0(VALU_DEP_3) | instskip(NEXT) | instid1(VALU_DEP_1)
	v_div_fixup_f64 v[12:13], v[12:13], v[48:49], 1.0
	v_mul_f64_e32 v[6:7], v[10:11], v[12:13]
	s_delay_alu instid0(VALU_DEP_3)
	v_mul_f64_e32 v[8:9], v[12:13], v[8:9]
	global_store_b128 v[46:47], v[6:9], off
	s_cbranch_scc1 .LBB11_24
.LBB11_25:
	s_nop 0
	s_sendmsg sendmsg(MSG_DEALLOC_VGPRS)
	s_endpgm
	.section	.rodata,"a",@progbits
	.p2align	6, 0x0
	.amdhsa_kernel _ZN9rocsparseL39gpsv_interleaved_batch_givens_qr_kernelILj128E21rocsparse_complex_numIdEEEviiiPT0_S4_S4_S4_S4_S4_S4_S4_
		.amdhsa_group_segment_fixed_size 0
		.amdhsa_private_segment_fixed_size 0
		.amdhsa_kernarg_size 80
		.amdhsa_user_sgpr_count 2
		.amdhsa_user_sgpr_dispatch_ptr 0
		.amdhsa_user_sgpr_queue_ptr 0
		.amdhsa_user_sgpr_kernarg_segment_ptr 1
		.amdhsa_user_sgpr_dispatch_id 0
		.amdhsa_user_sgpr_private_segment_size 0
		.amdhsa_wavefront_size32 1
		.amdhsa_uses_dynamic_stack 0
		.amdhsa_enable_private_segment 0
		.amdhsa_system_sgpr_workgroup_id_x 1
		.amdhsa_system_sgpr_workgroup_id_y 0
		.amdhsa_system_sgpr_workgroup_id_z 0
		.amdhsa_system_sgpr_workgroup_info 0
		.amdhsa_system_vgpr_workitem_id 0
		.amdhsa_next_free_vgpr 106
		.amdhsa_next_free_sgpr 25
		.amdhsa_reserve_vcc 1
		.amdhsa_float_round_mode_32 0
		.amdhsa_float_round_mode_16_64 0
		.amdhsa_float_denorm_mode_32 3
		.amdhsa_float_denorm_mode_16_64 3
		.amdhsa_fp16_overflow 0
		.amdhsa_workgroup_processor_mode 1
		.amdhsa_memory_ordered 1
		.amdhsa_forward_progress 1
		.amdhsa_inst_pref_size 73
		.amdhsa_round_robin_scheduling 0
		.amdhsa_exception_fp_ieee_invalid_op 0
		.amdhsa_exception_fp_denorm_src 0
		.amdhsa_exception_fp_ieee_div_zero 0
		.amdhsa_exception_fp_ieee_overflow 0
		.amdhsa_exception_fp_ieee_underflow 0
		.amdhsa_exception_fp_ieee_inexact 0
		.amdhsa_exception_int_div_zero 0
	.end_amdhsa_kernel
	.section	.text._ZN9rocsparseL39gpsv_interleaved_batch_givens_qr_kernelILj128E21rocsparse_complex_numIdEEEviiiPT0_S4_S4_S4_S4_S4_S4_S4_,"axG",@progbits,_ZN9rocsparseL39gpsv_interleaved_batch_givens_qr_kernelILj128E21rocsparse_complex_numIdEEEviiiPT0_S4_S4_S4_S4_S4_S4_S4_,comdat
.Lfunc_end11:
	.size	_ZN9rocsparseL39gpsv_interleaved_batch_givens_qr_kernelILj128E21rocsparse_complex_numIdEEEviiiPT0_S4_S4_S4_S4_S4_S4_S4_, .Lfunc_end11-_ZN9rocsparseL39gpsv_interleaved_batch_givens_qr_kernelILj128E21rocsparse_complex_numIdEEEviiiPT0_S4_S4_S4_S4_S4_S4_S4_
                                        ; -- End function
	.set _ZN9rocsparseL39gpsv_interleaved_batch_givens_qr_kernelILj128E21rocsparse_complex_numIdEEEviiiPT0_S4_S4_S4_S4_S4_S4_S4_.num_vgpr, 106
	.set _ZN9rocsparseL39gpsv_interleaved_batch_givens_qr_kernelILj128E21rocsparse_complex_numIdEEEviiiPT0_S4_S4_S4_S4_S4_S4_S4_.num_agpr, 0
	.set _ZN9rocsparseL39gpsv_interleaved_batch_givens_qr_kernelILj128E21rocsparse_complex_numIdEEEviiiPT0_S4_S4_S4_S4_S4_S4_S4_.numbered_sgpr, 25
	.set _ZN9rocsparseL39gpsv_interleaved_batch_givens_qr_kernelILj128E21rocsparse_complex_numIdEEEviiiPT0_S4_S4_S4_S4_S4_S4_S4_.num_named_barrier, 0
	.set _ZN9rocsparseL39gpsv_interleaved_batch_givens_qr_kernelILj128E21rocsparse_complex_numIdEEEviiiPT0_S4_S4_S4_S4_S4_S4_S4_.private_seg_size, 0
	.set _ZN9rocsparseL39gpsv_interleaved_batch_givens_qr_kernelILj128E21rocsparse_complex_numIdEEEviiiPT0_S4_S4_S4_S4_S4_S4_S4_.uses_vcc, 1
	.set _ZN9rocsparseL39gpsv_interleaved_batch_givens_qr_kernelILj128E21rocsparse_complex_numIdEEEviiiPT0_S4_S4_S4_S4_S4_S4_S4_.uses_flat_scratch, 0
	.set _ZN9rocsparseL39gpsv_interleaved_batch_givens_qr_kernelILj128E21rocsparse_complex_numIdEEEviiiPT0_S4_S4_S4_S4_S4_S4_S4_.has_dyn_sized_stack, 0
	.set _ZN9rocsparseL39gpsv_interleaved_batch_givens_qr_kernelILj128E21rocsparse_complex_numIdEEEviiiPT0_S4_S4_S4_S4_S4_S4_S4_.has_recursion, 0
	.set _ZN9rocsparseL39gpsv_interleaved_batch_givens_qr_kernelILj128E21rocsparse_complex_numIdEEEviiiPT0_S4_S4_S4_S4_S4_S4_S4_.has_indirect_call, 0
	.section	.AMDGPU.csdata,"",@progbits
; Kernel info:
; codeLenInByte = 9256
; TotalNumSgprs: 27
; NumVgprs: 106
; ScratchSize: 0
; MemoryBound: 0
; FloatMode: 240
; IeeeMode: 1
; LDSByteSize: 0 bytes/workgroup (compile time only)
; SGPRBlocks: 0
; VGPRBlocks: 13
; NumSGPRsForWavesPerEU: 27
; NumVGPRsForWavesPerEU: 106
; Occupancy: 12
; WaveLimiterHint : 0
; COMPUTE_PGM_RSRC2:SCRATCH_EN: 0
; COMPUTE_PGM_RSRC2:USER_SGPR: 2
; COMPUTE_PGM_RSRC2:TRAP_HANDLER: 0
; COMPUTE_PGM_RSRC2:TGID_X_EN: 1
; COMPUTE_PGM_RSRC2:TGID_Y_EN: 0
; COMPUTE_PGM_RSRC2:TGID_Z_EN: 0
; COMPUTE_PGM_RSRC2:TIDIG_COMP_CNT: 0
	.section	.AMDGPU.gpr_maximums,"",@progbits
	.set amdgpu.max_num_vgpr, 0
	.set amdgpu.max_num_agpr, 0
	.set amdgpu.max_num_sgpr, 0
	.section	.AMDGPU.csdata,"",@progbits
	.type	__hip_cuid_ef98751536ba714,@object ; @__hip_cuid_ef98751536ba714
	.section	.bss,"aw",@nobits
	.globl	__hip_cuid_ef98751536ba714
__hip_cuid_ef98751536ba714:
	.byte	0                               ; 0x0
	.size	__hip_cuid_ef98751536ba714, 1

	.ident	"AMD clang version 22.0.0git (https://github.com/RadeonOpenCompute/llvm-project roc-7.2.4 26084 f58b06dce1f9c15707c5f808fd002e18c2accf7e)"
	.section	".note.GNU-stack","",@progbits
	.addrsig
	.addrsig_sym __hip_cuid_ef98751536ba714
	.amdgpu_metadata
---
amdhsa.kernels:
  - .args:
      - .offset:         0
        .size:           4
        .value_kind:     by_value
      - .offset:         4
        .size:           4
        .value_kind:     by_value
      - .offset:         8
        .size:           4
        .value_kind:     by_value
      - .actual_access:  read_only
        .address_space:  global
        .offset:         16
        .size:           8
        .value_kind:     global_buffer
      - .actual_access:  write_only
        .address_space:  global
        .offset:         24
        .size:           8
        .value_kind:     global_buffer
      - .offset:         32
        .size:           4
        .value_kind:     hidden_block_count_x
      - .offset:         36
        .size:           4
        .value_kind:     hidden_block_count_y
      - .offset:         40
        .size:           4
        .value_kind:     hidden_block_count_z
      - .offset:         44
        .size:           2
        .value_kind:     hidden_group_size_x
      - .offset:         46
        .size:           2
        .value_kind:     hidden_group_size_y
      - .offset:         48
        .size:           2
        .value_kind:     hidden_group_size_z
      - .offset:         50
        .size:           2
        .value_kind:     hidden_remainder_x
      - .offset:         52
        .size:           2
        .value_kind:     hidden_remainder_y
      - .offset:         54
        .size:           2
        .value_kind:     hidden_remainder_z
      - .offset:         72
        .size:           8
        .value_kind:     hidden_global_offset_x
      - .offset:         80
        .size:           8
        .value_kind:     hidden_global_offset_y
      - .offset:         88
        .size:           8
        .value_kind:     hidden_global_offset_z
      - .offset:         96
        .size:           2
        .value_kind:     hidden_grid_dims
    .group_segment_fixed_size: 0
    .kernarg_segment_align: 8
    .kernarg_segment_size: 288
    .language:       OpenCL C
    .language_version:
      - 2
      - 0
    .max_flat_workgroup_size: 256
    .name:           _ZN9rocsparseL19gpsv_strided_gatherILj256EfEEviiiPKT0_PS1_
    .private_segment_fixed_size: 0
    .sgpr_count:     9
    .sgpr_spill_count: 0
    .symbol:         _ZN9rocsparseL19gpsv_strided_gatherILj256EfEEviiiPKT0_PS1_.kd
    .uniform_work_group_size: 1
    .uses_dynamic_stack: false
    .vgpr_count:     5
    .vgpr_spill_count: 0
    .wavefront_size: 32
    .workgroup_processor_mode: 1
  - .args:
      - .offset:         0
        .size:           4
        .value_kind:     by_value
      - .offset:         4
        .size:           4
        .value_kind:     by_value
      - .offset:         8
        .size:           4
        .value_kind:     by_value
      - .address_space:  global
        .offset:         16
        .size:           8
        .value_kind:     global_buffer
      - .address_space:  global
        .offset:         24
        .size:           8
        .value_kind:     global_buffer
      - .address_space:  global
        .offset:         32
        .size:           8
        .value_kind:     global_buffer
      - .address_space:  global
        .offset:         40
        .size:           8
        .value_kind:     global_buffer
      - .address_space:  global
        .offset:         48
        .size:           8
        .value_kind:     global_buffer
      - .address_space:  global
        .offset:         56
        .size:           8
        .value_kind:     global_buffer
      - .address_space:  global
        .offset:         64
        .size:           8
        .value_kind:     global_buffer
      - .address_space:  global
        .offset:         72
        .size:           8
        .value_kind:     global_buffer
      - .address_space:  global
        .offset:         80
        .size:           8
        .value_kind:     global_buffer
      - .offset:         88
        .size:           4
        .value_kind:     hidden_block_count_x
      - .offset:         92
        .size:           4
        .value_kind:     hidden_block_count_y
      - .offset:         96
        .size:           4
        .value_kind:     hidden_block_count_z
      - .offset:         100
        .size:           2
        .value_kind:     hidden_group_size_x
      - .offset:         102
        .size:           2
        .value_kind:     hidden_group_size_y
      - .offset:         104
        .size:           2
        .value_kind:     hidden_group_size_z
      - .offset:         106
        .size:           2
        .value_kind:     hidden_remainder_x
      - .offset:         108
        .size:           2
        .value_kind:     hidden_remainder_y
      - .offset:         110
        .size:           2
        .value_kind:     hidden_remainder_z
      - .offset:         128
        .size:           8
        .value_kind:     hidden_global_offset_x
      - .offset:         136
        .size:           8
        .value_kind:     hidden_global_offset_y
      - .offset:         144
        .size:           8
        .value_kind:     hidden_global_offset_z
      - .offset:         152
        .size:           2
        .value_kind:     hidden_grid_dims
    .group_segment_fixed_size: 0
    .kernarg_segment_align: 8
    .kernarg_segment_size: 344
    .language:       OpenCL C
    .language_version:
      - 2
      - 0
    .max_flat_workgroup_size: 256
    .name:           _ZN9rocsparseL44gpsv_interleaved_batch_householder_qr_kernelILj256EfEEviiiPT0_S2_S2_S2_S2_S2_S2_S2_S2_
    .private_segment_fixed_size: 0
    .sgpr_count:     29
    .sgpr_spill_count: 0
    .symbol:         _ZN9rocsparseL44gpsv_interleaved_batch_householder_qr_kernelILj256EfEEviiiPT0_S2_S2_S2_S2_S2_S2_S2_S2_.kd
    .uniform_work_group_size: 1
    .uses_dynamic_stack: false
    .vgpr_count:     78
    .vgpr_spill_count: 0
    .wavefront_size: 32
    .workgroup_processor_mode: 1
  - .args:
      - .offset:         0
        .size:           4
        .value_kind:     by_value
      - .offset:         4
        .size:           4
        .value_kind:     by_value
      - .offset:         8
        .size:           4
        .value_kind:     by_value
      - .actual_access:  read_only
        .address_space:  global
        .offset:         16
        .size:           8
        .value_kind:     global_buffer
      - .address_space:  global
        .offset:         24
        .size:           8
        .value_kind:     global_buffer
      - .address_space:  global
        .offset:         32
        .size:           8
        .value_kind:     global_buffer
      - .address_space:  global
        .offset:         40
        .size:           8
        .value_kind:     global_buffer
      - .address_space:  global
        .offset:         48
        .size:           8
        .value_kind:     global_buffer
      - .address_space:  global
        .offset:         56
        .size:           8
        .value_kind:     global_buffer
      - .address_space:  global
        .offset:         64
        .size:           8
        .value_kind:     global_buffer
      - .address_space:  global
        .offset:         72
        .size:           8
        .value_kind:     global_buffer
    .group_segment_fixed_size: 0
    .kernarg_segment_align: 8
    .kernarg_segment_size: 80
    .language:       OpenCL C
    .language_version:
      - 2
      - 0
    .max_flat_workgroup_size: 128
    .name:           _ZN9rocsparseL39gpsv_interleaved_batch_givens_qr_kernelILj128EfEEviiiPT0_S2_S2_S2_S2_S2_S2_S2_
    .private_segment_fixed_size: 0
    .sgpr_count:     26
    .sgpr_spill_count: 0
    .symbol:         _ZN9rocsparseL39gpsv_interleaved_batch_givens_qr_kernelILj128EfEEviiiPT0_S2_S2_S2_S2_S2_S2_S2_.kd
    .uniform_work_group_size: 1
    .uses_dynamic_stack: false
    .vgpr_count:     54
    .vgpr_spill_count: 0
    .wavefront_size: 32
    .workgroup_processor_mode: 1
  - .args:
      - .offset:         0
        .size:           4
        .value_kind:     by_value
      - .offset:         4
        .size:           4
        .value_kind:     by_value
      - .offset:         8
        .size:           4
        .value_kind:     by_value
      - .actual_access:  read_only
        .address_space:  global
        .offset:         16
        .size:           8
        .value_kind:     global_buffer
      - .actual_access:  write_only
        .address_space:  global
        .offset:         24
        .size:           8
        .value_kind:     global_buffer
      - .offset:         32
        .size:           4
        .value_kind:     hidden_block_count_x
      - .offset:         36
        .size:           4
        .value_kind:     hidden_block_count_y
      - .offset:         40
        .size:           4
        .value_kind:     hidden_block_count_z
      - .offset:         44
        .size:           2
        .value_kind:     hidden_group_size_x
      - .offset:         46
        .size:           2
        .value_kind:     hidden_group_size_y
      - .offset:         48
        .size:           2
        .value_kind:     hidden_group_size_z
      - .offset:         50
        .size:           2
        .value_kind:     hidden_remainder_x
      - .offset:         52
        .size:           2
        .value_kind:     hidden_remainder_y
      - .offset:         54
        .size:           2
        .value_kind:     hidden_remainder_z
      - .offset:         72
        .size:           8
        .value_kind:     hidden_global_offset_x
      - .offset:         80
        .size:           8
        .value_kind:     hidden_global_offset_y
      - .offset:         88
        .size:           8
        .value_kind:     hidden_global_offset_z
      - .offset:         96
        .size:           2
        .value_kind:     hidden_grid_dims
    .group_segment_fixed_size: 0
    .kernarg_segment_align: 8
    .kernarg_segment_size: 288
    .language:       OpenCL C
    .language_version:
      - 2
      - 0
    .max_flat_workgroup_size: 256
    .name:           _ZN9rocsparseL19gpsv_strided_gatherILj256EdEEviiiPKT0_PS1_
    .private_segment_fixed_size: 0
    .sgpr_count:     9
    .sgpr_spill_count: 0
    .symbol:         _ZN9rocsparseL19gpsv_strided_gatherILj256EdEEviiiPKT0_PS1_.kd
    .uniform_work_group_size: 1
    .uses_dynamic_stack: false
    .vgpr_count:     8
    .vgpr_spill_count: 0
    .wavefront_size: 32
    .workgroup_processor_mode: 1
  - .args:
      - .offset:         0
        .size:           4
        .value_kind:     by_value
      - .offset:         4
        .size:           4
        .value_kind:     by_value
      - .offset:         8
        .size:           4
        .value_kind:     by_value
      - .address_space:  global
        .offset:         16
        .size:           8
        .value_kind:     global_buffer
      - .address_space:  global
        .offset:         24
        .size:           8
        .value_kind:     global_buffer
      - .address_space:  global
        .offset:         32
        .size:           8
        .value_kind:     global_buffer
      - .address_space:  global
        .offset:         40
        .size:           8
        .value_kind:     global_buffer
      - .address_space:  global
        .offset:         48
        .size:           8
        .value_kind:     global_buffer
      - .address_space:  global
        .offset:         56
        .size:           8
        .value_kind:     global_buffer
      - .address_space:  global
        .offset:         64
        .size:           8
        .value_kind:     global_buffer
      - .address_space:  global
        .offset:         72
        .size:           8
        .value_kind:     global_buffer
      - .address_space:  global
        .offset:         80
        .size:           8
        .value_kind:     global_buffer
      - .offset:         88
        .size:           4
        .value_kind:     hidden_block_count_x
      - .offset:         92
        .size:           4
        .value_kind:     hidden_block_count_y
      - .offset:         96
        .size:           4
        .value_kind:     hidden_block_count_z
      - .offset:         100
        .size:           2
        .value_kind:     hidden_group_size_x
      - .offset:         102
        .size:           2
        .value_kind:     hidden_group_size_y
      - .offset:         104
        .size:           2
        .value_kind:     hidden_group_size_z
      - .offset:         106
        .size:           2
        .value_kind:     hidden_remainder_x
      - .offset:         108
        .size:           2
        .value_kind:     hidden_remainder_y
      - .offset:         110
        .size:           2
        .value_kind:     hidden_remainder_z
      - .offset:         128
        .size:           8
        .value_kind:     hidden_global_offset_x
      - .offset:         136
        .size:           8
        .value_kind:     hidden_global_offset_y
      - .offset:         144
        .size:           8
        .value_kind:     hidden_global_offset_z
      - .offset:         152
        .size:           2
        .value_kind:     hidden_grid_dims
    .group_segment_fixed_size: 0
    .kernarg_segment_align: 8
    .kernarg_segment_size: 344
    .language:       OpenCL C
    .language_version:
      - 2
      - 0
    .max_flat_workgroup_size: 256
    .name:           _ZN9rocsparseL44gpsv_interleaved_batch_householder_qr_kernelILj256EdEEviiiPT0_S2_S2_S2_S2_S2_S2_S2_S2_
    .private_segment_fixed_size: 0
    .sgpr_count:     30
    .sgpr_spill_count: 0
    .symbol:         _ZN9rocsparseL44gpsv_interleaved_batch_householder_qr_kernelILj256EdEEviiiPT0_S2_S2_S2_S2_S2_S2_S2_S2_.kd
    .uniform_work_group_size: 1
    .uses_dynamic_stack: false
    .vgpr_count:     92
    .vgpr_spill_count: 0
    .wavefront_size: 32
    .workgroup_processor_mode: 1
  - .args:
      - .offset:         0
        .size:           4
        .value_kind:     by_value
      - .offset:         4
        .size:           4
        .value_kind:     by_value
      - .offset:         8
        .size:           4
        .value_kind:     by_value
      - .actual_access:  read_only
        .address_space:  global
        .offset:         16
        .size:           8
        .value_kind:     global_buffer
      - .address_space:  global
        .offset:         24
        .size:           8
        .value_kind:     global_buffer
      - .address_space:  global
        .offset:         32
        .size:           8
        .value_kind:     global_buffer
      - .address_space:  global
        .offset:         40
        .size:           8
        .value_kind:     global_buffer
      - .address_space:  global
        .offset:         48
        .size:           8
        .value_kind:     global_buffer
      - .address_space:  global
        .offset:         56
        .size:           8
        .value_kind:     global_buffer
      - .address_space:  global
        .offset:         64
        .size:           8
        .value_kind:     global_buffer
      - .address_space:  global
        .offset:         72
        .size:           8
        .value_kind:     global_buffer
    .group_segment_fixed_size: 0
    .kernarg_segment_align: 8
    .kernarg_segment_size: 80
    .language:       OpenCL C
    .language_version:
      - 2
      - 0
    .max_flat_workgroup_size: 128
    .name:           _ZN9rocsparseL39gpsv_interleaved_batch_givens_qr_kernelILj128EdEEviiiPT0_S2_S2_S2_S2_S2_S2_S2_
    .private_segment_fixed_size: 0
    .sgpr_count:     26
    .sgpr_spill_count: 0
    .symbol:         _ZN9rocsparseL39gpsv_interleaved_batch_givens_qr_kernelILj128EdEEviiiPT0_S2_S2_S2_S2_S2_S2_S2_.kd
    .uniform_work_group_size: 1
    .uses_dynamic_stack: false
    .vgpr_count:     80
    .vgpr_spill_count: 0
    .wavefront_size: 32
    .workgroup_processor_mode: 1
  - .args:
      - .offset:         0
        .size:           4
        .value_kind:     by_value
      - .offset:         4
        .size:           4
        .value_kind:     by_value
      - .offset:         8
        .size:           4
        .value_kind:     by_value
      - .actual_access:  read_only
        .address_space:  global
        .offset:         16
        .size:           8
        .value_kind:     global_buffer
      - .actual_access:  write_only
        .address_space:  global
        .offset:         24
        .size:           8
        .value_kind:     global_buffer
      - .offset:         32
        .size:           4
        .value_kind:     hidden_block_count_x
      - .offset:         36
        .size:           4
        .value_kind:     hidden_block_count_y
      - .offset:         40
        .size:           4
        .value_kind:     hidden_block_count_z
      - .offset:         44
        .size:           2
        .value_kind:     hidden_group_size_x
      - .offset:         46
        .size:           2
        .value_kind:     hidden_group_size_y
      - .offset:         48
        .size:           2
        .value_kind:     hidden_group_size_z
      - .offset:         50
        .size:           2
        .value_kind:     hidden_remainder_x
      - .offset:         52
        .size:           2
        .value_kind:     hidden_remainder_y
      - .offset:         54
        .size:           2
        .value_kind:     hidden_remainder_z
      - .offset:         72
        .size:           8
        .value_kind:     hidden_global_offset_x
      - .offset:         80
        .size:           8
        .value_kind:     hidden_global_offset_y
      - .offset:         88
        .size:           8
        .value_kind:     hidden_global_offset_z
      - .offset:         96
        .size:           2
        .value_kind:     hidden_grid_dims
    .group_segment_fixed_size: 0
    .kernarg_segment_align: 8
    .kernarg_segment_size: 288
    .language:       OpenCL C
    .language_version:
      - 2
      - 0
    .max_flat_workgroup_size: 256
    .name:           _ZN9rocsparseL19gpsv_strided_gatherILj256E21rocsparse_complex_numIfEEEviiiPKT0_PS3_
    .private_segment_fixed_size: 0
    .sgpr_count:     9
    .sgpr_spill_count: 0
    .symbol:         _ZN9rocsparseL19gpsv_strided_gatherILj256E21rocsparse_complex_numIfEEEviiiPKT0_PS3_.kd
    .uniform_work_group_size: 1
    .uses_dynamic_stack: false
    .vgpr_count:     8
    .vgpr_spill_count: 0
    .wavefront_size: 32
    .workgroup_processor_mode: 1
  - .args:
      - .offset:         0
        .size:           4
        .value_kind:     by_value
      - .offset:         4
        .size:           4
        .value_kind:     by_value
      - .offset:         8
        .size:           4
        .value_kind:     by_value
      - .address_space:  global
        .offset:         16
        .size:           8
        .value_kind:     global_buffer
      - .address_space:  global
        .offset:         24
        .size:           8
        .value_kind:     global_buffer
      - .address_space:  global
        .offset:         32
        .size:           8
        .value_kind:     global_buffer
      - .address_space:  global
        .offset:         40
        .size:           8
        .value_kind:     global_buffer
      - .address_space:  global
        .offset:         48
        .size:           8
        .value_kind:     global_buffer
      - .address_space:  global
        .offset:         56
        .size:           8
        .value_kind:     global_buffer
      - .address_space:  global
        .offset:         64
        .size:           8
        .value_kind:     global_buffer
      - .address_space:  global
        .offset:         72
        .size:           8
        .value_kind:     global_buffer
      - .address_space:  global
        .offset:         80
        .size:           8
        .value_kind:     global_buffer
      - .offset:         88
        .size:           4
        .value_kind:     hidden_block_count_x
      - .offset:         92
        .size:           4
        .value_kind:     hidden_block_count_y
      - .offset:         96
        .size:           4
        .value_kind:     hidden_block_count_z
      - .offset:         100
        .size:           2
        .value_kind:     hidden_group_size_x
      - .offset:         102
        .size:           2
        .value_kind:     hidden_group_size_y
      - .offset:         104
        .size:           2
        .value_kind:     hidden_group_size_z
      - .offset:         106
        .size:           2
        .value_kind:     hidden_remainder_x
      - .offset:         108
        .size:           2
        .value_kind:     hidden_remainder_y
      - .offset:         110
        .size:           2
        .value_kind:     hidden_remainder_z
      - .offset:         128
        .size:           8
        .value_kind:     hidden_global_offset_x
      - .offset:         136
        .size:           8
        .value_kind:     hidden_global_offset_y
      - .offset:         144
        .size:           8
        .value_kind:     hidden_global_offset_z
      - .offset:         152
        .size:           2
        .value_kind:     hidden_grid_dims
    .group_segment_fixed_size: 0
    .kernarg_segment_align: 8
    .kernarg_segment_size: 344
    .language:       OpenCL C
    .language_version:
      - 2
      - 0
    .max_flat_workgroup_size: 256
    .name:           _ZN9rocsparseL44gpsv_interleaved_batch_householder_qr_kernelILj256E21rocsparse_complex_numIfEEEviiiPT0_S4_S4_S4_S4_S4_S4_S4_S4_
    .private_segment_fixed_size: 0
    .sgpr_count:     31
    .sgpr_spill_count: 0
    .symbol:         _ZN9rocsparseL44gpsv_interleaved_batch_householder_qr_kernelILj256E21rocsparse_complex_numIfEEEviiiPT0_S4_S4_S4_S4_S4_S4_S4_S4_.kd
    .uniform_work_group_size: 1
    .uses_dynamic_stack: false
    .vgpr_count:     91
    .vgpr_spill_count: 0
    .wavefront_size: 32
    .workgroup_processor_mode: 1
  - .args:
      - .offset:         0
        .size:           4
        .value_kind:     by_value
      - .offset:         4
        .size:           4
        .value_kind:     by_value
      - .offset:         8
        .size:           4
        .value_kind:     by_value
      - .actual_access:  read_only
        .address_space:  global
        .offset:         16
        .size:           8
        .value_kind:     global_buffer
      - .address_space:  global
        .offset:         24
        .size:           8
        .value_kind:     global_buffer
      - .address_space:  global
        .offset:         32
        .size:           8
        .value_kind:     global_buffer
      - .address_space:  global
        .offset:         40
        .size:           8
        .value_kind:     global_buffer
      - .address_space:  global
        .offset:         48
        .size:           8
        .value_kind:     global_buffer
      - .address_space:  global
        .offset:         56
        .size:           8
        .value_kind:     global_buffer
      - .address_space:  global
        .offset:         64
        .size:           8
        .value_kind:     global_buffer
      - .address_space:  global
        .offset:         72
        .size:           8
        .value_kind:     global_buffer
    .group_segment_fixed_size: 0
    .kernarg_segment_align: 8
    .kernarg_segment_size: 80
    .language:       OpenCL C
    .language_version:
      - 2
      - 0
    .max_flat_workgroup_size: 128
    .name:           _ZN9rocsparseL39gpsv_interleaved_batch_givens_qr_kernelILj128E21rocsparse_complex_numIfEEEviiiPT0_S4_S4_S4_S4_S4_S4_S4_
    .private_segment_fixed_size: 0
    .sgpr_count:     28
    .sgpr_spill_count: 0
    .symbol:         _ZN9rocsparseL39gpsv_interleaved_batch_givens_qr_kernelILj128E21rocsparse_complex_numIfEEEviiiPT0_S4_S4_S4_S4_S4_S4_S4_.kd
    .uniform_work_group_size: 1
    .uses_dynamic_stack: false
    .vgpr_count:     78
    .vgpr_spill_count: 0
    .wavefront_size: 32
    .workgroup_processor_mode: 1
  - .args:
      - .offset:         0
        .size:           4
        .value_kind:     by_value
      - .offset:         4
        .size:           4
        .value_kind:     by_value
      - .offset:         8
        .size:           4
        .value_kind:     by_value
      - .actual_access:  read_only
        .address_space:  global
        .offset:         16
        .size:           8
        .value_kind:     global_buffer
      - .actual_access:  write_only
        .address_space:  global
        .offset:         24
        .size:           8
        .value_kind:     global_buffer
      - .offset:         32
        .size:           4
        .value_kind:     hidden_block_count_x
      - .offset:         36
        .size:           4
        .value_kind:     hidden_block_count_y
      - .offset:         40
        .size:           4
        .value_kind:     hidden_block_count_z
      - .offset:         44
        .size:           2
        .value_kind:     hidden_group_size_x
      - .offset:         46
        .size:           2
        .value_kind:     hidden_group_size_y
      - .offset:         48
        .size:           2
        .value_kind:     hidden_group_size_z
      - .offset:         50
        .size:           2
        .value_kind:     hidden_remainder_x
      - .offset:         52
        .size:           2
        .value_kind:     hidden_remainder_y
      - .offset:         54
        .size:           2
        .value_kind:     hidden_remainder_z
      - .offset:         72
        .size:           8
        .value_kind:     hidden_global_offset_x
      - .offset:         80
        .size:           8
        .value_kind:     hidden_global_offset_y
      - .offset:         88
        .size:           8
        .value_kind:     hidden_global_offset_z
      - .offset:         96
        .size:           2
        .value_kind:     hidden_grid_dims
    .group_segment_fixed_size: 0
    .kernarg_segment_align: 8
    .kernarg_segment_size: 288
    .language:       OpenCL C
    .language_version:
      - 2
      - 0
    .max_flat_workgroup_size: 256
    .name:           _ZN9rocsparseL19gpsv_strided_gatherILj256E21rocsparse_complex_numIdEEEviiiPKT0_PS3_
    .private_segment_fixed_size: 0
    .sgpr_count:     9
    .sgpr_spill_count: 0
    .symbol:         _ZN9rocsparseL19gpsv_strided_gatherILj256E21rocsparse_complex_numIdEEEviiiPKT0_PS3_.kd
    .uniform_work_group_size: 1
    .uses_dynamic_stack: false
    .vgpr_count:     10
    .vgpr_spill_count: 0
    .wavefront_size: 32
    .workgroup_processor_mode: 1
  - .args:
      - .offset:         0
        .size:           4
        .value_kind:     by_value
      - .offset:         4
        .size:           4
        .value_kind:     by_value
      - .offset:         8
        .size:           4
        .value_kind:     by_value
      - .address_space:  global
        .offset:         16
        .size:           8
        .value_kind:     global_buffer
      - .address_space:  global
        .offset:         24
        .size:           8
        .value_kind:     global_buffer
      - .address_space:  global
        .offset:         32
        .size:           8
        .value_kind:     global_buffer
      - .address_space:  global
        .offset:         40
        .size:           8
        .value_kind:     global_buffer
      - .address_space:  global
        .offset:         48
        .size:           8
        .value_kind:     global_buffer
      - .address_space:  global
        .offset:         56
        .size:           8
        .value_kind:     global_buffer
      - .address_space:  global
        .offset:         64
        .size:           8
        .value_kind:     global_buffer
      - .address_space:  global
        .offset:         72
        .size:           8
        .value_kind:     global_buffer
      - .address_space:  global
        .offset:         80
        .size:           8
        .value_kind:     global_buffer
      - .offset:         88
        .size:           4
        .value_kind:     hidden_block_count_x
      - .offset:         92
        .size:           4
        .value_kind:     hidden_block_count_y
      - .offset:         96
        .size:           4
        .value_kind:     hidden_block_count_z
      - .offset:         100
        .size:           2
        .value_kind:     hidden_group_size_x
      - .offset:         102
        .size:           2
        .value_kind:     hidden_group_size_y
      - .offset:         104
        .size:           2
        .value_kind:     hidden_group_size_z
      - .offset:         106
        .size:           2
        .value_kind:     hidden_remainder_x
      - .offset:         108
        .size:           2
        .value_kind:     hidden_remainder_y
      - .offset:         110
        .size:           2
        .value_kind:     hidden_remainder_z
      - .offset:         128
        .size:           8
        .value_kind:     hidden_global_offset_x
      - .offset:         136
        .size:           8
        .value_kind:     hidden_global_offset_y
      - .offset:         144
        .size:           8
        .value_kind:     hidden_global_offset_z
      - .offset:         152
        .size:           2
        .value_kind:     hidden_grid_dims
    .group_segment_fixed_size: 0
    .kernarg_segment_align: 8
    .kernarg_segment_size: 344
    .language:       OpenCL C
    .language_version:
      - 2
      - 0
    .max_flat_workgroup_size: 256
    .name:           _ZN9rocsparseL44gpsv_interleaved_batch_householder_qr_kernelILj256E21rocsparse_complex_numIdEEEviiiPT0_S4_S4_S4_S4_S4_S4_S4_S4_
    .private_segment_fixed_size: 0
    .sgpr_count:     31
    .sgpr_spill_count: 0
    .symbol:         _ZN9rocsparseL44gpsv_interleaved_batch_householder_qr_kernelILj256E21rocsparse_complex_numIdEEEviiiPT0_S4_S4_S4_S4_S4_S4_S4_S4_.kd
    .uniform_work_group_size: 1
    .uses_dynamic_stack: false
    .vgpr_count:     133
    .vgpr_spill_count: 0
    .wavefront_size: 32
    .workgroup_processor_mode: 1
  - .args:
      - .offset:         0
        .size:           4
        .value_kind:     by_value
      - .offset:         4
        .size:           4
        .value_kind:     by_value
      - .offset:         8
        .size:           4
        .value_kind:     by_value
      - .actual_access:  read_only
        .address_space:  global
        .offset:         16
        .size:           8
        .value_kind:     global_buffer
      - .address_space:  global
        .offset:         24
        .size:           8
        .value_kind:     global_buffer
      - .address_space:  global
        .offset:         32
        .size:           8
        .value_kind:     global_buffer
      - .address_space:  global
        .offset:         40
        .size:           8
        .value_kind:     global_buffer
      - .address_space:  global
        .offset:         48
        .size:           8
        .value_kind:     global_buffer
      - .address_space:  global
        .offset:         56
        .size:           8
        .value_kind:     global_buffer
      - .address_space:  global
        .offset:         64
        .size:           8
        .value_kind:     global_buffer
      - .address_space:  global
        .offset:         72
        .size:           8
        .value_kind:     global_buffer
    .group_segment_fixed_size: 0
    .kernarg_segment_align: 8
    .kernarg_segment_size: 80
    .language:       OpenCL C
    .language_version:
      - 2
      - 0
    .max_flat_workgroup_size: 128
    .name:           _ZN9rocsparseL39gpsv_interleaved_batch_givens_qr_kernelILj128E21rocsparse_complex_numIdEEEviiiPT0_S4_S4_S4_S4_S4_S4_S4_
    .private_segment_fixed_size: 0
    .sgpr_count:     27
    .sgpr_spill_count: 0
    .symbol:         _ZN9rocsparseL39gpsv_interleaved_batch_givens_qr_kernelILj128E21rocsparse_complex_numIdEEEviiiPT0_S4_S4_S4_S4_S4_S4_S4_.kd
    .uniform_work_group_size: 1
    .uses_dynamic_stack: false
    .vgpr_count:     106
    .vgpr_spill_count: 0
    .wavefront_size: 32
    .workgroup_processor_mode: 1
amdhsa.target:   amdgcn-amd-amdhsa--gfx1201
amdhsa.version:
  - 1
  - 2
...

	.end_amdgpu_metadata
